;; amdgpu-corpus repo=ROCm/rocBLAS kind=compiled arch=gfx950 opt=O3
	.amdgcn_target "amdgcn-amd-amdhsa--gfx950"
	.amdhsa_code_object_version 6
	.section	.text._ZL19rocblas_copy_kernelIlLi256EPfS0_EviT1_lT_lT2_lS2_li,"axG",@progbits,_ZL19rocblas_copy_kernelIlLi256EPfS0_EviT1_lT_lT2_lS2_li,comdat
	.globl	_ZL19rocblas_copy_kernelIlLi256EPfS0_EviT1_lT_lT2_lS2_li ; -- Begin function _ZL19rocblas_copy_kernelIlLi256EPfS0_EviT1_lT_lT2_lS2_li
	.p2align	8
	.type	_ZL19rocblas_copy_kernelIlLi256EPfS0_EviT1_lT_lT2_lS2_li,@function
_ZL19rocblas_copy_kernelIlLi256EPfS0_EviT1_lT_lT2_lS2_li: ; @_ZL19rocblas_copy_kernelIlLi256EPfS0_EviT1_lT_lT2_lS2_li
; %bb.0:
	s_load_dword s4, s[0:1], 0x0
	v_lshl_or_b32 v0, s2, 8, v0
	v_mov_b32_e32 v1, 0
	s_waitcnt lgkmcnt(0)
	s_ashr_i32 s5, s4, 31
	v_cmp_gt_i64_e32 vcc, s[4:5], v[0:1]
	s_and_saveexec_b64 s[4:5], vcc
	s_cbranch_execz .LBB0_2
; %bb.1:
	s_load_dwordx16 s[4:19], s[0:1], 0x8
	s_waitcnt lgkmcnt(0)
	s_mul_i32 s1, s19, s3
	s_mul_hi_u32 s2, s18, s3
	s_mul_i32 s0, s18, s3
	s_add_i32 s1, s2, s1
	s_lshl_b64 s[0:1], s[0:1], 2
	s_add_u32 s2, s12, s0
	s_addc_u32 s12, s13, s1
	s_lshl_b64 s[0:1], s[14:15], 2
	s_mul_i32 s11, s11, s3
	s_add_u32 s0, s2, s0
	s_mul_hi_u32 s2, s10, s3
	s_addc_u32 s1, s12, s1
	s_add_i32 s11, s2, s11
	s_mul_i32 s10, s10, s3
	s_lshl_b64 s[2:3], s[10:11], 2
	s_add_u32 s4, s4, s2
	s_addc_u32 s5, s5, s3
	s_lshl_b64 s[2:3], s[6:7], 2
	s_add_u32 s2, s4, s2
	s_addc_u32 s3, s5, s3
	v_mad_u64_u32 v[2:3], s[4:5], s8, v0, 0
	v_mov_b32_e32 v4, v3
	v_mad_u64_u32 v[4:5], s[4:5], s9, v0, v[4:5]
	v_mov_b32_e32 v3, v4
	v_lshl_add_u64 v[2:3], v[2:3], 2, s[2:3]
	global_load_dword v5, v[2:3], off
	v_mad_u64_u32 v[2:3], s[2:3], s16, v0, 0
	v_mov_b32_e32 v4, v3
	s_waitcnt vmcnt(0)
	v_mad_u64_u32 v[0:1], s[2:3], s17, v0, v[4:5]
	v_mov_b32_e32 v3, v0
	v_lshl_add_u64 v[0:1], v[2:3], 2, s[0:1]
	global_store_dword v[0:1], v5, off
.LBB0_2:
	s_endpgm
	.section	.rodata,"a",@progbits
	.p2align	6, 0x0
	.amdhsa_kernel _ZL19rocblas_copy_kernelIlLi256EPfS0_EviT1_lT_lT2_lS2_li
		.amdhsa_group_segment_fixed_size 0
		.amdhsa_private_segment_fixed_size 0
		.amdhsa_kernarg_size 76
		.amdhsa_user_sgpr_count 2
		.amdhsa_user_sgpr_dispatch_ptr 0
		.amdhsa_user_sgpr_queue_ptr 0
		.amdhsa_user_sgpr_kernarg_segment_ptr 1
		.amdhsa_user_sgpr_dispatch_id 0
		.amdhsa_user_sgpr_kernarg_preload_length 0
		.amdhsa_user_sgpr_kernarg_preload_offset 0
		.amdhsa_user_sgpr_private_segment_size 0
		.amdhsa_uses_dynamic_stack 0
		.amdhsa_enable_private_segment 0
		.amdhsa_system_sgpr_workgroup_id_x 1
		.amdhsa_system_sgpr_workgroup_id_y 0
		.amdhsa_system_sgpr_workgroup_id_z 1
		.amdhsa_system_sgpr_workgroup_info 0
		.amdhsa_system_vgpr_workitem_id 0
		.amdhsa_next_free_vgpr 6
		.amdhsa_next_free_sgpr 20
		.amdhsa_accum_offset 8
		.amdhsa_reserve_vcc 1
		.amdhsa_float_round_mode_32 0
		.amdhsa_float_round_mode_16_64 0
		.amdhsa_float_denorm_mode_32 3
		.amdhsa_float_denorm_mode_16_64 3
		.amdhsa_dx10_clamp 1
		.amdhsa_ieee_mode 1
		.amdhsa_fp16_overflow 0
		.amdhsa_tg_split 0
		.amdhsa_exception_fp_ieee_invalid_op 0
		.amdhsa_exception_fp_denorm_src 0
		.amdhsa_exception_fp_ieee_div_zero 0
		.amdhsa_exception_fp_ieee_overflow 0
		.amdhsa_exception_fp_ieee_underflow 0
		.amdhsa_exception_fp_ieee_inexact 0
		.amdhsa_exception_int_div_zero 0
	.end_amdhsa_kernel
	.section	.text._ZL19rocblas_copy_kernelIlLi256EPfS0_EviT1_lT_lT2_lS2_li,"axG",@progbits,_ZL19rocblas_copy_kernelIlLi256EPfS0_EviT1_lT_lT2_lS2_li,comdat
.Lfunc_end0:
	.size	_ZL19rocblas_copy_kernelIlLi256EPfS0_EviT1_lT_lT2_lS2_li, .Lfunc_end0-_ZL19rocblas_copy_kernelIlLi256EPfS0_EviT1_lT_lT2_lS2_li
                                        ; -- End function
	.set _ZL19rocblas_copy_kernelIlLi256EPfS0_EviT1_lT_lT2_lS2_li.num_vgpr, 6
	.set _ZL19rocblas_copy_kernelIlLi256EPfS0_EviT1_lT_lT2_lS2_li.num_agpr, 0
	.set _ZL19rocblas_copy_kernelIlLi256EPfS0_EviT1_lT_lT2_lS2_li.numbered_sgpr, 20
	.set _ZL19rocblas_copy_kernelIlLi256EPfS0_EviT1_lT_lT2_lS2_li.num_named_barrier, 0
	.set _ZL19rocblas_copy_kernelIlLi256EPfS0_EviT1_lT_lT2_lS2_li.private_seg_size, 0
	.set _ZL19rocblas_copy_kernelIlLi256EPfS0_EviT1_lT_lT2_lS2_li.uses_vcc, 1
	.set _ZL19rocblas_copy_kernelIlLi256EPfS0_EviT1_lT_lT2_lS2_li.uses_flat_scratch, 0
	.set _ZL19rocblas_copy_kernelIlLi256EPfS0_EviT1_lT_lT2_lS2_li.has_dyn_sized_stack, 0
	.set _ZL19rocblas_copy_kernelIlLi256EPfS0_EviT1_lT_lT2_lS2_li.has_recursion, 0
	.set _ZL19rocblas_copy_kernelIlLi256EPfS0_EviT1_lT_lT2_lS2_li.has_indirect_call, 0
	.section	.AMDGPU.csdata,"",@progbits
; Kernel info:
; codeLenInByte = 220
; TotalNumSgprs: 26
; NumVgprs: 6
; NumAgprs: 0
; TotalNumVgprs: 6
; ScratchSize: 0
; MemoryBound: 0
; FloatMode: 240
; IeeeMode: 1
; LDSByteSize: 0 bytes/workgroup (compile time only)
; SGPRBlocks: 3
; VGPRBlocks: 0
; NumSGPRsForWavesPerEU: 26
; NumVGPRsForWavesPerEU: 6
; AccumOffset: 8
; Occupancy: 8
; WaveLimiterHint : 0
; COMPUTE_PGM_RSRC2:SCRATCH_EN: 0
; COMPUTE_PGM_RSRC2:USER_SGPR: 2
; COMPUTE_PGM_RSRC2:TRAP_HANDLER: 0
; COMPUTE_PGM_RSRC2:TGID_X_EN: 1
; COMPUTE_PGM_RSRC2:TGID_Y_EN: 0
; COMPUTE_PGM_RSRC2:TGID_Z_EN: 1
; COMPUTE_PGM_RSRC2:TIDIG_COMP_CNT: 0
; COMPUTE_PGM_RSRC3_GFX90A:ACCUM_OFFSET: 1
; COMPUTE_PGM_RSRC3_GFX90A:TG_SPLIT: 0
	.section	.text._ZL22rocblas_scopy_2_kernelILi256EPfS0_EviT0_llT1_lli,"axG",@progbits,_ZL22rocblas_scopy_2_kernelILi256EPfS0_EviT0_llT1_lli,comdat
	.globl	_ZL22rocblas_scopy_2_kernelILi256EPfS0_EviT0_llT1_lli ; -- Begin function _ZL22rocblas_scopy_2_kernelILi256EPfS0_EviT0_llT1_lli
	.p2align	8
	.type	_ZL22rocblas_scopy_2_kernelILi256EPfS0_EviT0_llT1_lli,@function
_ZL22rocblas_scopy_2_kernelILi256EPfS0_EviT0_llT1_lli: ; @_ZL22rocblas_scopy_2_kernelILi256EPfS0_EviT0_llT1_lli
; %bb.0:
	s_load_dword s8, s[0:1], 0x0
	s_load_dwordx2 s[10:11], s[0:1], 0x8
	s_load_dwordx4 s[4:7], s[0:1], 0x10
	s_load_dwordx2 s[16:17], s[0:1], 0x20
	s_load_dwordx4 s[12:15], s[0:1], 0x28
	v_lshlrev_b32_e32 v0, 1, v0
	v_lshl_or_b32 v0, s2, 9, v0
	s_waitcnt lgkmcnt(0)
	s_mul_i32 s0, s7, s3
	s_mul_hi_u32 s1, s6, s3
	s_add_i32 s1, s1, s0
	s_mul_i32 s0, s6, s3
	s_lshl_b64 s[0:1], s[0:1], 2
	s_add_u32 s2, s10, s0
	s_addc_u32 s6, s11, s1
	s_lshl_b64 s[0:1], s[4:5], 2
	s_add_u32 s0, s2, s0
	s_mul_i32 s2, s15, s3
	s_mul_hi_u32 s4, s14, s3
	s_addc_u32 s1, s6, s1
	s_add_i32 s5, s4, s2
	s_mul_i32 s4, s14, s3
	s_lshl_b64 s[2:3], s[4:5], 2
	s_add_u32 s4, s16, s2
	s_addc_u32 s5, s17, s3
	s_lshl_b64 s[2:3], s[12:13], 2
	s_add_u32 s2, s4, s2
	s_addc_u32 s3, s5, s3
	s_add_i32 s4, s8, -1
	v_mov_b32_e32 v1, 0
	s_ashr_i32 s5, s4, 31
	v_cmp_gt_i64_e32 vcc, s[4:5], v[0:1]
	v_lshlrev_b64 v[2:3], 2, v[0:1]
	s_and_saveexec_b64 s[6:7], vcc
	s_cbranch_execz .LBB1_2
; %bb.1:
	v_lshl_add_u64 v[4:5], s[0:1], 0, v[2:3]
	global_load_dwordx2 v[4:5], v[4:5], off
	v_lshl_add_u64 v[6:7], s[2:3], 0, v[2:3]
	s_waitcnt vmcnt(0)
	global_store_dwordx2 v[6:7], v[4:5], off
.LBB1_2:
	s_or_b64 exec, exec, s[6:7]
	s_bitcmp1_b32 s8, 0
	s_cselect_b64 s[6:7], -1, 0
	v_cmp_eq_u64_e32 vcc, s[4:5], v[0:1]
	s_and_b64 s[4:5], s[6:7], vcc
	s_and_saveexec_b64 s[6:7], s[4:5]
	s_cbranch_execz .LBB1_4
; %bb.3:
	v_lshl_add_u64 v[0:1], s[0:1], 0, v[2:3]
	global_load_dword v4, v[0:1], off
	v_lshl_add_u64 v[0:1], s[2:3], 0, v[2:3]
	s_waitcnt vmcnt(0)
	global_store_dword v[0:1], v4, off
.LBB1_4:
	s_endpgm
	.section	.rodata,"a",@progbits
	.p2align	6, 0x0
	.amdhsa_kernel _ZL22rocblas_scopy_2_kernelILi256EPfS0_EviT0_llT1_lli
		.amdhsa_group_segment_fixed_size 0
		.amdhsa_private_segment_fixed_size 0
		.amdhsa_kernarg_size 60
		.amdhsa_user_sgpr_count 2
		.amdhsa_user_sgpr_dispatch_ptr 0
		.amdhsa_user_sgpr_queue_ptr 0
		.amdhsa_user_sgpr_kernarg_segment_ptr 1
		.amdhsa_user_sgpr_dispatch_id 0
		.amdhsa_user_sgpr_kernarg_preload_length 0
		.amdhsa_user_sgpr_kernarg_preload_offset 0
		.amdhsa_user_sgpr_private_segment_size 0
		.amdhsa_uses_dynamic_stack 0
		.amdhsa_enable_private_segment 0
		.amdhsa_system_sgpr_workgroup_id_x 1
		.amdhsa_system_sgpr_workgroup_id_y 0
		.amdhsa_system_sgpr_workgroup_id_z 1
		.amdhsa_system_sgpr_workgroup_info 0
		.amdhsa_system_vgpr_workitem_id 0
		.amdhsa_next_free_vgpr 8
		.amdhsa_next_free_sgpr 18
		.amdhsa_accum_offset 8
		.amdhsa_reserve_vcc 1
		.amdhsa_float_round_mode_32 0
		.amdhsa_float_round_mode_16_64 0
		.amdhsa_float_denorm_mode_32 3
		.amdhsa_float_denorm_mode_16_64 3
		.amdhsa_dx10_clamp 1
		.amdhsa_ieee_mode 1
		.amdhsa_fp16_overflow 0
		.amdhsa_tg_split 0
		.amdhsa_exception_fp_ieee_invalid_op 0
		.amdhsa_exception_fp_denorm_src 0
		.amdhsa_exception_fp_ieee_div_zero 0
		.amdhsa_exception_fp_ieee_overflow 0
		.amdhsa_exception_fp_ieee_underflow 0
		.amdhsa_exception_fp_ieee_inexact 0
		.amdhsa_exception_int_div_zero 0
	.end_amdhsa_kernel
	.section	.text._ZL22rocblas_scopy_2_kernelILi256EPfS0_EviT0_llT1_lli,"axG",@progbits,_ZL22rocblas_scopy_2_kernelILi256EPfS0_EviT0_llT1_lli,comdat
.Lfunc_end1:
	.size	_ZL22rocblas_scopy_2_kernelILi256EPfS0_EviT0_llT1_lli, .Lfunc_end1-_ZL22rocblas_scopy_2_kernelILi256EPfS0_EviT0_llT1_lli
                                        ; -- End function
	.set _ZL22rocblas_scopy_2_kernelILi256EPfS0_EviT0_llT1_lli.num_vgpr, 8
	.set _ZL22rocblas_scopy_2_kernelILi256EPfS0_EviT0_llT1_lli.num_agpr, 0
	.set _ZL22rocblas_scopy_2_kernelILi256EPfS0_EviT0_llT1_lli.numbered_sgpr, 18
	.set _ZL22rocblas_scopy_2_kernelILi256EPfS0_EviT0_llT1_lli.num_named_barrier, 0
	.set _ZL22rocblas_scopy_2_kernelILi256EPfS0_EviT0_llT1_lli.private_seg_size, 0
	.set _ZL22rocblas_scopy_2_kernelILi256EPfS0_EviT0_llT1_lli.uses_vcc, 1
	.set _ZL22rocblas_scopy_2_kernelILi256EPfS0_EviT0_llT1_lli.uses_flat_scratch, 0
	.set _ZL22rocblas_scopy_2_kernelILi256EPfS0_EviT0_llT1_lli.has_dyn_sized_stack, 0
	.set _ZL22rocblas_scopy_2_kernelILi256EPfS0_EviT0_llT1_lli.has_recursion, 0
	.set _ZL22rocblas_scopy_2_kernelILi256EPfS0_EviT0_llT1_lli.has_indirect_call, 0
	.section	.AMDGPU.csdata,"",@progbits
; Kernel info:
; codeLenInByte = 272
; TotalNumSgprs: 24
; NumVgprs: 8
; NumAgprs: 0
; TotalNumVgprs: 8
; ScratchSize: 0
; MemoryBound: 0
; FloatMode: 240
; IeeeMode: 1
; LDSByteSize: 0 bytes/workgroup (compile time only)
; SGPRBlocks: 2
; VGPRBlocks: 0
; NumSGPRsForWavesPerEU: 24
; NumVGPRsForWavesPerEU: 8
; AccumOffset: 8
; Occupancy: 8
; WaveLimiterHint : 0
; COMPUTE_PGM_RSRC2:SCRATCH_EN: 0
; COMPUTE_PGM_RSRC2:USER_SGPR: 2
; COMPUTE_PGM_RSRC2:TRAP_HANDLER: 0
; COMPUTE_PGM_RSRC2:TGID_X_EN: 1
; COMPUTE_PGM_RSRC2:TGID_Y_EN: 0
; COMPUTE_PGM_RSRC2:TGID_Z_EN: 1
; COMPUTE_PGM_RSRC2:TIDIG_COMP_CNT: 0
; COMPUTE_PGM_RSRC3_GFX90A:ACCUM_OFFSET: 1
; COMPUTE_PGM_RSRC3_GFX90A:TG_SPLIT: 0
	.section	.text._ZL19rocblas_copy_kernelIiLi256EPfS0_EviT1_lT_lT2_lS2_li,"axG",@progbits,_ZL19rocblas_copy_kernelIiLi256EPfS0_EviT1_lT_lT2_lS2_li,comdat
	.globl	_ZL19rocblas_copy_kernelIiLi256EPfS0_EviT1_lT_lT2_lS2_li ; -- Begin function _ZL19rocblas_copy_kernelIiLi256EPfS0_EviT1_lT_lT2_lS2_li
	.p2align	8
	.type	_ZL19rocblas_copy_kernelIiLi256EPfS0_EviT1_lT_lT2_lS2_li,@function
_ZL19rocblas_copy_kernelIiLi256EPfS0_EviT1_lT_lT2_lS2_li: ; @_ZL19rocblas_copy_kernelIiLi256EPfS0_EviT1_lT_lT2_lS2_li
; %bb.0:
	s_load_dword s4, s[0:1], 0x0
	v_lshl_or_b32 v0, s2, 8, v0
	v_mov_b32_e32 v1, 0
	s_waitcnt lgkmcnt(0)
	s_ashr_i32 s5, s4, 31
	v_cmp_gt_i64_e32 vcc, s[4:5], v[0:1]
	s_and_saveexec_b64 s[4:5], vcc
	s_cbranch_execz .LBB2_2
; %bb.1:
	s_load_dwordx4 s[4:7], s[0:1], 0x8
	s_load_dword s16, s[0:1], 0x18
	s_load_dword s17, s[0:1], 0x38
	s_load_dwordx2 s[12:13], s[0:1], 0x40
	s_load_dwordx4 s[8:11], s[0:1], 0x20
	s_load_dwordx2 s[14:15], s[0:1], 0x30
	s_waitcnt lgkmcnt(0)
	s_ashr_i32 s18, s16, 31
	s_ashr_i32 s19, s17, 31
	s_mul_i32 s0, s13, s3
	s_mul_hi_u32 s1, s12, s3
	s_add_i32 s1, s1, s0
	s_mul_i32 s0, s12, s3
	s_lshl_b64 s[0:1], s[0:1], 2
	s_add_u32 s2, s10, s0
	s_addc_u32 s10, s11, s1
	s_lshl_b64 s[0:1], s[14:15], 2
	s_add_u32 s0, s2, s0
	s_mul_i32 s2, s9, s3
	s_mul_hi_u32 s9, s8, s3
	s_addc_u32 s1, s10, s1
	s_add_i32 s9, s9, s2
	s_mul_i32 s8, s8, s3
	s_lshl_b64 s[2:3], s[8:9], 2
	s_add_u32 s4, s4, s2
	s_addc_u32 s5, s5, s3
	s_lshl_b64 s[2:3], s[6:7], 2
	s_add_u32 s2, s4, s2
	s_addc_u32 s3, s5, s3
	v_mad_u64_u32 v[2:3], s[4:5], s16, v0, 0
	v_mov_b32_e32 v4, v3
	v_mad_u64_u32 v[4:5], s[4:5], s18, v0, v[4:5]
	v_mov_b32_e32 v3, v4
	v_lshl_add_u64 v[2:3], v[2:3], 2, s[2:3]
	global_load_dword v5, v[2:3], off
	v_mad_u64_u32 v[2:3], s[2:3], s17, v0, 0
	v_mov_b32_e32 v4, v3
	s_waitcnt vmcnt(0)
	v_mad_u64_u32 v[0:1], s[2:3], s19, v0, v[4:5]
	v_mov_b32_e32 v3, v0
	v_lshl_add_u64 v[0:1], v[2:3], 2, s[0:1]
	global_store_dword v[0:1], v5, off
.LBB2_2:
	s_endpgm
	.section	.rodata,"a",@progbits
	.p2align	6, 0x0
	.amdhsa_kernel _ZL19rocblas_copy_kernelIiLi256EPfS0_EviT1_lT_lT2_lS2_li
		.amdhsa_group_segment_fixed_size 0
		.amdhsa_private_segment_fixed_size 0
		.amdhsa_kernarg_size 76
		.amdhsa_user_sgpr_count 2
		.amdhsa_user_sgpr_dispatch_ptr 0
		.amdhsa_user_sgpr_queue_ptr 0
		.amdhsa_user_sgpr_kernarg_segment_ptr 1
		.amdhsa_user_sgpr_dispatch_id 0
		.amdhsa_user_sgpr_kernarg_preload_length 0
		.amdhsa_user_sgpr_kernarg_preload_offset 0
		.amdhsa_user_sgpr_private_segment_size 0
		.amdhsa_uses_dynamic_stack 0
		.amdhsa_enable_private_segment 0
		.amdhsa_system_sgpr_workgroup_id_x 1
		.amdhsa_system_sgpr_workgroup_id_y 0
		.amdhsa_system_sgpr_workgroup_id_z 1
		.amdhsa_system_sgpr_workgroup_info 0
		.amdhsa_system_vgpr_workitem_id 0
		.amdhsa_next_free_vgpr 6
		.amdhsa_next_free_sgpr 20
		.amdhsa_accum_offset 8
		.amdhsa_reserve_vcc 1
		.amdhsa_float_round_mode_32 0
		.amdhsa_float_round_mode_16_64 0
		.amdhsa_float_denorm_mode_32 3
		.amdhsa_float_denorm_mode_16_64 3
		.amdhsa_dx10_clamp 1
		.amdhsa_ieee_mode 1
		.amdhsa_fp16_overflow 0
		.amdhsa_tg_split 0
		.amdhsa_exception_fp_ieee_invalid_op 0
		.amdhsa_exception_fp_denorm_src 0
		.amdhsa_exception_fp_ieee_div_zero 0
		.amdhsa_exception_fp_ieee_overflow 0
		.amdhsa_exception_fp_ieee_underflow 0
		.amdhsa_exception_fp_ieee_inexact 0
		.amdhsa_exception_int_div_zero 0
	.end_amdhsa_kernel
	.section	.text._ZL19rocblas_copy_kernelIiLi256EPfS0_EviT1_lT_lT2_lS2_li,"axG",@progbits,_ZL19rocblas_copy_kernelIiLi256EPfS0_EviT1_lT_lT2_lS2_li,comdat
.Lfunc_end2:
	.size	_ZL19rocblas_copy_kernelIiLi256EPfS0_EviT1_lT_lT2_lS2_li, .Lfunc_end2-_ZL19rocblas_copy_kernelIiLi256EPfS0_EviT1_lT_lT2_lS2_li
                                        ; -- End function
	.set _ZL19rocblas_copy_kernelIiLi256EPfS0_EviT1_lT_lT2_lS2_li.num_vgpr, 6
	.set _ZL19rocblas_copy_kernelIiLi256EPfS0_EviT1_lT_lT2_lS2_li.num_agpr, 0
	.set _ZL19rocblas_copy_kernelIiLi256EPfS0_EviT1_lT_lT2_lS2_li.numbered_sgpr, 20
	.set _ZL19rocblas_copy_kernelIiLi256EPfS0_EviT1_lT_lT2_lS2_li.num_named_barrier, 0
	.set _ZL19rocblas_copy_kernelIiLi256EPfS0_EviT1_lT_lT2_lS2_li.private_seg_size, 0
	.set _ZL19rocblas_copy_kernelIiLi256EPfS0_EviT1_lT_lT2_lS2_li.uses_vcc, 1
	.set _ZL19rocblas_copy_kernelIiLi256EPfS0_EviT1_lT_lT2_lS2_li.uses_flat_scratch, 0
	.set _ZL19rocblas_copy_kernelIiLi256EPfS0_EviT1_lT_lT2_lS2_li.has_dyn_sized_stack, 0
	.set _ZL19rocblas_copy_kernelIiLi256EPfS0_EviT1_lT_lT2_lS2_li.has_recursion, 0
	.set _ZL19rocblas_copy_kernelIiLi256EPfS0_EviT1_lT_lT2_lS2_li.has_indirect_call, 0
	.section	.AMDGPU.csdata,"",@progbits
; Kernel info:
; codeLenInByte = 268
; TotalNumSgprs: 26
; NumVgprs: 6
; NumAgprs: 0
; TotalNumVgprs: 6
; ScratchSize: 0
; MemoryBound: 0
; FloatMode: 240
; IeeeMode: 1
; LDSByteSize: 0 bytes/workgroup (compile time only)
; SGPRBlocks: 3
; VGPRBlocks: 0
; NumSGPRsForWavesPerEU: 26
; NumVGPRsForWavesPerEU: 6
; AccumOffset: 8
; Occupancy: 8
; WaveLimiterHint : 0
; COMPUTE_PGM_RSRC2:SCRATCH_EN: 0
; COMPUTE_PGM_RSRC2:USER_SGPR: 2
; COMPUTE_PGM_RSRC2:TRAP_HANDLER: 0
; COMPUTE_PGM_RSRC2:TGID_X_EN: 1
; COMPUTE_PGM_RSRC2:TGID_Y_EN: 0
; COMPUTE_PGM_RSRC2:TGID_Z_EN: 1
; COMPUTE_PGM_RSRC2:TIDIG_COMP_CNT: 0
; COMPUTE_PGM_RSRC3_GFX90A:ACCUM_OFFSET: 1
; COMPUTE_PGM_RSRC3_GFX90A:TG_SPLIT: 0
	.section	.text._ZL20rocblas_tbmvx_kernelILi64ELi16EPKfPfEv18rocblas_operation_bbiiT1_lllS4_T2_llli,"axG",@progbits,_ZL20rocblas_tbmvx_kernelILi64ELi16EPKfPfEv18rocblas_operation_bbiiT1_lllS4_T2_llli,comdat
	.globl	_ZL20rocblas_tbmvx_kernelILi64ELi16EPKfPfEv18rocblas_operation_bbiiT1_lllS4_T2_llli ; -- Begin function _ZL20rocblas_tbmvx_kernelILi64ELi16EPKfPfEv18rocblas_operation_bbiiT1_lllS4_T2_llli
	.p2align	8
	.type	_ZL20rocblas_tbmvx_kernelILi64ELi16EPKfPfEv18rocblas_operation_bbiiT1_lllS4_T2_llli,@function
_ZL20rocblas_tbmvx_kernelILi64ELi16EPKfPfEv18rocblas_operation_bbiiT1_lllS4_T2_llli: ; @_ZL20rocblas_tbmvx_kernelILi64ELi16EPKfPfEv18rocblas_operation_bbiiT1_lllS4_T2_llli
; %bb.0:
	s_load_dwordx2 s[4:5], s[0:1], 0x6c
	s_waitcnt lgkmcnt(0)
	s_lshr_b32 s7, s4, 16
	s_and_b32 s6, s4, 0xffff
	s_and_b32 s5, s5, 0xffff
	s_mul_i32 s4, s7, s6
	s_mul_i32 s4, s4, s5
	s_cmpk_lg_i32 s4, 0x400
	s_cbranch_scc1 .LBB3_60
; %bb.1:
	s_load_dwordx2 s[36:37], s[0:1], 0x0
	s_load_dwordx4 s[24:27], s[0:1], 0x4
	s_load_dwordx16 s[8:23], s[0:1], 0x10
	v_and_b32_e32 v1, 0x3ff, v0
	v_bfe_u32 v0, v0, 10, 10
	s_waitcnt lgkmcnt(0)
	s_bitcmp1_b32 s37, 0
	s_cselect_b64 s[28:29], -1, 0
	s_bitcmp1_b32 s24, 8
	s_mul_i32 s7, s15, s3
	s_mul_hi_u32 s15, s14, s3
	s_cselect_b64 s[30:31], -1, 0
	s_add_i32 s15, s15, s7
	s_ashr_i32 s7, s25, 31
	s_mul_hi_u32 s24, s25, s3
	s_mul_i32 s7, s7, s3
	v_mad_u32_u24 v9, v0, s6, v1
	s_add_i32 s35, s24, s7
	v_and_b32_e32 v15, 63, v9
	s_lshl_b32 s2, s2, 6
	s_mov_b64 s[4:5], -1
	s_mul_i32 s14, s14, s3
	s_mul_i32 s34, s25, s3
	v_lshrrev_b32_e32 v0, 6, v9
	s_cmpk_lg_i32 s36, 0x6f
	v_or_b32_e32 v2, s2, v15
	s_cbranch_scc0 .LBB3_32
; %bb.2:
	v_mov_b32_e32 v1, 0
	v_cmp_gt_i64_e32 vcc, s[12:13], v[0:1]
	v_cmp_ge_i32_e64 s[4:5], s26, v0
	s_and_b64 s[4:5], s[4:5], vcc
	s_and_saveexec_b64 s[36:37], s[4:5]
	s_cbranch_execz .LBB3_31
; %bb.3:
	s_xor_b64 s[38:39], s[28:29], -1
	s_xor_b64 s[40:41], s[30:31], -1
	s_lshl_b64 s[6:7], s[14:15], 2
	s_add_u32 s4, s8, s6
	s_addc_u32 s5, s9, s7
	s_lshl_b64 s[44:45], s[10:11], 2
	s_add_u32 s46, s4, s44
	s_addc_u32 s47, s5, s45
	s_lshl_b64 s[4:5], s[34:35], 2
	v_ashrrev_i32_e32 v3, 31, v2
	s_add_u32 s42, s16, s4
	v_mul_lo_u32 v6, s13, v2
	v_mul_lo_u32 v7, s12, v3
	v_mad_u64_u32 v[4:5], s[48:49], s12, v2, 0
	v_add_u32_e32 v8, s2, v15
	s_addc_u32 s43, s17, s5
	v_add3_u32 v5, v5, v7, v6
	v_ashrrev_i32_e32 v10, 31, v8
	v_lshl_add_u64 v[4:5], v[4:5], 2, s[46:47]
	v_mul_lo_u32 v12, s12, v10
	v_mul_lo_u32 v13, s13, v8
	v_mad_u64_u32 v[10:11], s[46:47], s12, v8, 0
	s_add_u32 s6, s44, s6
	v_add3_u32 v11, v11, v12, v13
	s_addc_u32 s7, s45, s7
	v_lshl_add_u64 v[12:13], v[10:11], 2, s[6:7]
	v_lshlrev_b32_e32 v10, 2, v0
	v_mov_b32_e32 v11, 0
	v_lshl_add_u64 v[12:13], v[12:13], 0, v[10:11]
	v_cmp_gt_i32_e64 s[4:5], s25, v2
	v_xad_u32 v18, v2, -1, s25
	v_lshl_add_u64 v[6:7], v[2:3], 2, s[42:43]
	v_sub_u32_e32 v3, s26, v2
	v_lshl_add_u64 v[12:13], s[8:9], 0, v[12:13]
	v_subrev_u32_e32 v14, s26, v8
	s_mov_b64 s[44:45], 0
	v_mov_b64_e32 v[16:17], v[0:1]
	v_mov_b32_e32 v1, 0
	s_branch .LBB3_9
.LBB3_4:                                ;   in Loop: Header=BB3_9 Depth=1
	v_mov_b32_e32 v1, v10
.LBB3_5:                                ;   in Loop: Header=BB3_9 Depth=1
	s_or_b64 exec, exec, s[48:49]
.LBB3_6:                                ;   in Loop: Header=BB3_9 Depth=1
	s_or_b64 exec, exec, s[6:7]
	v_mov_b32_e32 v10, v1
.LBB3_7:                                ;   in Loop: Header=BB3_9 Depth=1
	v_mov_b32_e32 v1, v10
.LBB3_8:                                ;   in Loop: Header=BB3_9 Depth=1
	s_or_b64 exec, exec, s[46:47]
	v_lshl_add_u64 v[16:17], v[16:17], 0, 16
	v_mov_b32_e32 v10, v16
	v_cmp_le_u64_e32 vcc, s[12:13], v[10:11]
	v_cmp_lt_i32_e64 s[6:7], s26, v16
	s_or_b64 s[6:7], s[6:7], vcc
	s_and_b64 s[6:7], exec, s[6:7]
	s_or_b64 s[44:45], s[6:7], s[44:45]
	v_lshl_add_u64 v[12:13], v[12:13], 0, 64
	s_andn2_b64 exec, exec, s[44:45]
	s_cbranch_execz .LBB3_30
.LBB3_9:                                ; =>This Inner Loop Header: Depth=1
	s_and_saveexec_b64 s[46:47], s[4:5]
	s_cbranch_execz .LBB3_8
; %bb.10:                               ;   in Loop: Header=BB3_9 Depth=1
	s_mov_b64 s[6:7], -1
	s_and_b64 vcc, exec, s[38:39]
                                        ; implicit-def: $vgpr10
	s_cbranch_vccz .LBB3_21
; %bb.11:                               ;   in Loop: Header=BB3_9 Depth=1
	v_cmp_lt_i32_e32 vcc, v18, v16
	v_cmp_eq_u64_e64 s[6:7], 0, v[16:17]
	s_or_b64 s[6:7], s[6:7], vcc
                                        ; implicit-def: $vgpr10
	s_and_saveexec_b64 s[48:49], s[6:7]
	s_xor_b64 s[6:7], exec, s[48:49]
	s_cbranch_execz .LBB3_18
; %bb.12:                               ;   in Loop: Header=BB3_9 Depth=1
	v_cmp_eq_u64_e32 vcc, 0, v[16:17]
	v_mov_b32_e32 v10, v1
	s_and_saveexec_b64 s[48:49], vcc
	s_cbranch_execz .LBB3_17
; %bb.13:                               ;   in Loop: Header=BB3_9 Depth=1
	s_mov_b64 s[50:51], -1
	s_and_b64 vcc, exec, s[40:41]
                                        ; implicit-def: $vgpr10
	s_cbranch_vccz .LBB3_15
; %bb.14:                               ;   in Loop: Header=BB3_9 Depth=1
	global_load_dword v10, v[4:5], off
	global_load_dword v19, v[6:7], off
	s_mov_b64 s[50:51], 0
	s_waitcnt vmcnt(0)
	v_fma_f32 v10, v10, v19, v1
.LBB3_15:                               ;   in Loop: Header=BB3_9 Depth=1
	s_andn2_b64 vcc, exec, s[50:51]
	s_cbranch_vccnz .LBB3_17
; %bb.16:                               ;   in Loop: Header=BB3_9 Depth=1
	global_load_dword v10, v[6:7], off
	s_waitcnt vmcnt(0)
	v_add_f32_e32 v10, v1, v10
.LBB3_17:                               ;   in Loop: Header=BB3_9 Depth=1
	s_or_b64 exec, exec, s[48:49]
.LBB3_18:                               ;   in Loop: Header=BB3_9 Depth=1
	s_andn2_saveexec_b64 s[6:7], s[6:7]
	s_cbranch_execz .LBB3_20
; %bb.19:                               ;   in Loop: Header=BB3_9 Depth=1
	v_add_u32_e32 v20, v8, v16
	v_ashrrev_i32_e32 v21, 31, v20
	v_lshl_add_u64 v[20:21], v[20:21], 2, s[42:43]
	global_load_dword v10, v[12:13], off
	global_load_dword v19, v[20:21], off
	s_waitcnt vmcnt(0)
	v_fma_f32 v10, v10, v19, v1
.LBB3_20:                               ;   in Loop: Header=BB3_9 Depth=1
	s_or_b64 exec, exec, s[6:7]
	s_mov_b64 s[6:7], 0
.LBB3_21:                               ;   in Loop: Header=BB3_9 Depth=1
	s_andn2_b64 vcc, exec, s[6:7]
	s_cbranch_vccnz .LBB3_7
; %bb.22:                               ;   in Loop: Header=BB3_9 Depth=1
	v_cmp_gt_i32_e32 vcc, s26, v16
	v_cmp_le_i32_e64 s[6:7], v3, v16
	s_and_b64 s[6:7], vcc, s[6:7]
	s_and_saveexec_b64 s[48:49], s[6:7]
	s_xor_b64 s[6:7], exec, s[48:49]
	s_cbranch_execz .LBB3_24
; %bb.23:                               ;   in Loop: Header=BB3_9 Depth=1
	v_add_u32_e32 v10, v14, v16
	v_lshl_add_u64 v[20:21], v[10:11], 2, s[42:43]
	global_load_dword v19, v[12:13], off
	global_load_dword v10, v[20:21], off
	s_waitcnt vmcnt(0)
	v_fmac_f32_e32 v1, v19, v10
.LBB3_24:                               ;   in Loop: Header=BB3_9 Depth=1
	s_andn2_saveexec_b64 s[6:7], s[6:7]
	s_cbranch_execz .LBB3_6
; %bb.25:                               ;   in Loop: Header=BB3_9 Depth=1
	v_cmp_eq_u32_e32 vcc, s26, v16
	s_and_saveexec_b64 s[48:49], vcc
	s_cbranch_execz .LBB3_5
; %bb.26:                               ;   in Loop: Header=BB3_9 Depth=1
	s_mov_b64 s[50:51], -1
	s_and_b64 vcc, exec, s[40:41]
                                        ; implicit-def: $vgpr10
	s_cbranch_vccz .LBB3_28
; %bb.27:                               ;   in Loop: Header=BB3_9 Depth=1
	global_load_dword v10, v[12:13], off
	global_load_dword v19, v[6:7], off
	s_mov_b64 s[50:51], 0
	s_waitcnt vmcnt(0)
	v_fma_f32 v10, v10, v19, v1
.LBB3_28:                               ;   in Loop: Header=BB3_9 Depth=1
	s_andn2_b64 vcc, exec, s[50:51]
	s_cbranch_vccnz .LBB3_4
; %bb.29:                               ;   in Loop: Header=BB3_9 Depth=1
	global_load_dword v10, v[6:7], off
	s_waitcnt vmcnt(0)
	v_add_f32_e32 v10, v1, v10
	s_branch .LBB3_4
.LBB3_30:
	s_or_b64 exec, exec, s[44:45]
.LBB3_31:
	s_or_b64 exec, exec, s[36:37]
	s_mov_b64 s[4:5], 0
.LBB3_32:
	s_andn2_b64 vcc, exec, s[4:5]
	s_cbranch_vccnz .LBB3_58
; %bb.33:
	v_cmp_gt_i32_e32 vcc, s25, v0
	v_mov_b32_e32 v1, 0
	s_and_saveexec_b64 s[36:37], vcc
	s_cbranch_execz .LBB3_57
; %bb.34:
	s_and_b64 s[4:5], s[28:29], exec
	s_cselect_b32 s24, s26, 0
	s_and_b64 s[4:5], s[28:29], s[30:31]
	s_xor_b64 s[38:39], s[4:5], -1
	s_xor_b64 s[4:5], s[30:31], -1
	s_cmp_lg_u32 s26, 0
	s_cselect_b64 s[30:31], -1, 0
	s_and_b64 s[28:29], s[28:29], s[30:31]
	s_nor_b64 s[4:5], s[28:29], s[4:5]
	s_ashr_i32 s27, s26, 31
	s_lshl_b64 s[28:29], s[34:35], 2
	s_add_u32 s16, s16, s28
	s_addc_u32 s17, s17, s29
	s_lshl_b64 s[14:15], s[14:15], 2
	s_lshl_b64 s[10:11], s[10:11], 2
	s_add_u32 s8, s8, s10
	v_cmp_gt_i32_e64 s[6:7], s25, v2
	v_lshlrev_b32_e32 v2, 2, v0
	v_mov_b32_e32 v3, 0
	s_addc_u32 s9, s9, s11
	v_lshl_add_u64 v[4:5], s[16:17], 0, v[2:3]
	v_mad_u64_u32 v[6:7], s[16:17], s12, v0, 0
	s_add_u32 s8, s8, s14
	v_mov_b32_e32 v2, v7
	s_addc_u32 s9, s9, s15
	s_add_i32 s24, s24, s2
	v_mad_u64_u32 v[10:11], s[16:17], s13, v0, v[2:3]
	v_add_u32_e32 v1, s24, v15
	v_mov_b32_e32 v7, v10
	v_sub_u32_e32 v2, v1, v0
	v_cndmask_b32_e64 v1, 0, 1, s[4:5]
	v_lshl_add_u64 v[6:7], v[6:7], 2, s[8:9]
	s_lshl_b64 s[10:11], s[12:13], 6
	s_lshl_b64 s[14:15], s[26:27], 2
	s_mov_b64 s[12:13], 0
	v_cmp_ne_u32_e64 s[4:5], 1, v1
	v_mov_b32_e32 v1, v3
	s_branch .LBB3_37
.LBB3_35:                               ;   in Loop: Header=BB3_37 Depth=1
	s_or_b64 exec, exec, s[8:9]
.LBB3_36:                               ;   in Loop: Header=BB3_37 Depth=1
	s_or_b64 exec, exec, s[16:17]
	v_add_u32_e32 v0, 16, v0
	v_cmp_le_i32_e32 vcc, s25, v0
	v_lshl_add_u64 v[4:5], v[4:5], 0, 64
	v_lshl_add_u64 v[6:7], v[6:7], 0, s[10:11]
	s_or_b64 s[12:13], vcc, s[12:13]
	v_add_u32_e32 v2, -16, v2
	s_andn2_b64 exec, exec, s[12:13]
	s_cbranch_execz .LBB3_56
.LBB3_37:                               ; =>This Inner Loop Header: Depth=1
	s_and_saveexec_b64 s[16:17], s[6:7]
	s_cbranch_execz .LBB3_36
; %bb.38:                               ;   in Loop: Header=BB3_37 Depth=1
	v_cmp_le_i32_e32 vcc, s26, v2
	v_cmp_gt_i32_e64 s[8:9], 1, v2
	s_or_b64 s[8:9], vcc, s[8:9]
	s_and_saveexec_b64 s[28:29], s[8:9]
	s_xor_b64 s[8:9], exec, s[28:29]
	s_cbranch_execz .LBB3_54
; %bb.39:                               ;   in Loop: Header=BB3_37 Depth=1
	v_cmp_ne_u32_e32 vcc, 0, v2
	s_and_saveexec_b64 s[28:29], vcc
	s_xor_b64 s[28:29], exec, s[28:29]
	s_cbranch_execz .LBB3_47
; %bb.40:                               ;   in Loop: Header=BB3_37 Depth=1
	v_cmp_eq_u32_e32 vcc, s26, v2
	s_and_saveexec_b64 s[30:31], vcc
	s_cbranch_execz .LBB3_46
; %bb.41:                               ;   in Loop: Header=BB3_37 Depth=1
	s_mov_b64 s[34:35], -1
	s_and_b64 vcc, exec, s[38:39]
                                        ; implicit-def: $vgpr8
	s_cbranch_vccz .LBB3_43
; %bb.42:                               ;   in Loop: Header=BB3_37 Depth=1
	v_lshl_add_u64 v[10:11], v[6:7], 0, s[14:15]
	global_load_dword v8, v[4:5], off
	global_load_dword v12, v[10:11], off
	s_mov_b64 s[34:35], 0
	s_waitcnt vmcnt(0)
	v_fma_f32 v8, v12, v8, v1
.LBB3_43:                               ;   in Loop: Header=BB3_37 Depth=1
	s_andn2_b64 vcc, exec, s[34:35]
	s_cbranch_vccnz .LBB3_45
; %bb.44:                               ;   in Loop: Header=BB3_37 Depth=1
	global_load_dword v8, v[4:5], off
	s_waitcnt vmcnt(0)
	v_add_f32_e32 v8, v1, v8
.LBB3_45:                               ;   in Loop: Header=BB3_37 Depth=1
	v_mov_b32_e32 v1, v8
.LBB3_46:                               ;   in Loop: Header=BB3_37 Depth=1
	s_or_b64 exec, exec, s[30:31]
.LBB3_47:                               ;   in Loop: Header=BB3_37 Depth=1
	s_andn2_saveexec_b64 s[28:29], s[28:29]
	s_cbranch_execz .LBB3_53
; %bb.48:                               ;   in Loop: Header=BB3_37 Depth=1
	s_and_b64 vcc, exec, s[4:5]
	s_mov_b64 s[30:31], -1
                                        ; implicit-def: $vgpr8
	s_cbranch_vccnz .LBB3_50
; %bb.49:                               ;   in Loop: Header=BB3_37 Depth=1
	global_load_dword v8, v[4:5], off
	s_mov_b64 s[30:31], 0
	s_waitcnt vmcnt(0)
	v_add_f32_e32 v8, v1, v8
.LBB3_50:                               ;   in Loop: Header=BB3_37 Depth=1
	s_andn2_b64 vcc, exec, s[30:31]
	s_cbranch_vccnz .LBB3_52
; %bb.51:                               ;   in Loop: Header=BB3_37 Depth=1
	global_load_dword v8, v[6:7], off
	global_load_dword v10, v[4:5], off
	s_waitcnt vmcnt(0)
	v_fmac_f32_e32 v1, v8, v10
	v_mov_b32_e32 v8, v1
.LBB3_52:                               ;   in Loop: Header=BB3_37 Depth=1
	v_mov_b32_e32 v1, v8
.LBB3_53:                               ;   in Loop: Header=BB3_37 Depth=1
	s_or_b64 exec, exec, s[28:29]
.LBB3_54:                               ;   in Loop: Header=BB3_37 Depth=1
	s_andn2_saveexec_b64 s[8:9], s[8:9]
	s_cbranch_execz .LBB3_35
; %bb.55:                               ;   in Loop: Header=BB3_37 Depth=1
	v_lshl_add_u64 v[10:11], v[2:3], 2, v[6:7]
	global_load_dword v8, v[10:11], off
	global_load_dword v12, v[4:5], off
	s_waitcnt vmcnt(0)
	v_fmac_f32_e32 v1, v8, v12
	s_branch .LBB3_35
.LBB3_56:
	s_or_b64 exec, exec, s[12:13]
.LBB3_57:
	s_or_b64 exec, exec, s[36:37]
.LBB3_58:
	v_lshlrev_b32_e32 v0, 2, v9
	ds_write_b32 v0, v1
	v_add_u32_e32 v1, s2, v9
	v_cmp_gt_u32_e32 vcc, 64, v9
	v_cmp_gt_i32_e64 s[4:5], s25, v1
	s_and_b64 s[4:5], vcc, s[4:5]
	s_waitcnt lgkmcnt(0)
	s_barrier
	s_and_saveexec_b64 s[6:7], s[4:5]
	s_cbranch_execz .LBB3_60
; %bb.59:
	s_load_dwordx2 s[0:1], s[0:1], 0x50
	ds_read2st64_b32 v[2:3], v0 offset1:1
	ds_read2st64_b32 v[4:5], v0 offset0:2 offset1:3
	ds_read2st64_b32 v[6:7], v0 offset0:4 offset1:5
	;; [unrolled: 1-line block ×3, first 2 shown]
	s_waitcnt lgkmcnt(0)
	v_add_f32_e32 v2, v2, v3
	v_add_f32_e32 v2, v4, v2
	;; [unrolled: 1-line block ×6, first 2 shown]
	ds_read2st64_b32 v[2:3], v0 offset0:8 offset1:9
	v_add_f32_e32 v10, v9, v4
	ds_read2st64_b32 v[4:5], v0 offset0:10 offset1:11
	ds_read2st64_b32 v[6:7], v0 offset0:12 offset1:13
	;; [unrolled: 1-line block ×3, first 2 shown]
	s_mul_i32 s1, s1, s3
	s_mul_hi_u32 s2, s0, s3
	s_waitcnt lgkmcnt(3)
	v_add_f32_e32 v2, v2, v10
	v_add_f32_e32 v2, v3, v2
	s_waitcnt lgkmcnt(2)
	v_add_f32_e32 v2, v4, v2
	v_add_f32_e32 v2, v5, v2
	s_mul_i32 s0, s0, s3
	s_add_i32 s1, s2, s1
	s_waitcnt lgkmcnt(1)
	v_add_f32_e32 v2, v6, v2
	s_lshl_b64 s[0:1], s[0:1], 2
	v_add_f32_e32 v2, v7, v2
	s_add_u32 s2, s18, s0
	s_waitcnt lgkmcnt(0)
	v_add_f32_e32 v2, v8, v2
	s_addc_u32 s3, s19, s1
	s_lshl_b64 s[0:1], s[20:21], 2
	v_add_f32_e32 v2, v9, v2
	s_add_u32 s0, s2, s0
	ds_write_b32 v0, v2
	v_ashrrev_i32_e32 v0, 31, v1
	s_addc_u32 s1, s3, s1
	v_mul_lo_u32 v3, s23, v1
	v_mul_lo_u32 v4, s22, v0
	v_mad_u64_u32 v[0:1], s[2:3], s22, v1, 0
	v_add3_u32 v1, v1, v4, v3
	v_lshl_add_u64 v[0:1], v[0:1], 2, s[0:1]
	global_store_dword v[0:1], v2, off
.LBB3_60:
	s_endpgm
	.section	.rodata,"a",@progbits
	.p2align	6, 0x0
	.amdhsa_kernel _ZL20rocblas_tbmvx_kernelILi64ELi16EPKfPfEv18rocblas_operation_bbiiT1_lllS4_T2_llli
		.amdhsa_group_segment_fixed_size 4096
		.amdhsa_private_segment_fixed_size 0
		.amdhsa_kernarg_size 352
		.amdhsa_user_sgpr_count 2
		.amdhsa_user_sgpr_dispatch_ptr 0
		.amdhsa_user_sgpr_queue_ptr 0
		.amdhsa_user_sgpr_kernarg_segment_ptr 1
		.amdhsa_user_sgpr_dispatch_id 0
		.amdhsa_user_sgpr_kernarg_preload_length 0
		.amdhsa_user_sgpr_kernarg_preload_offset 0
		.amdhsa_user_sgpr_private_segment_size 0
		.amdhsa_uses_dynamic_stack 0
		.amdhsa_enable_private_segment 0
		.amdhsa_system_sgpr_workgroup_id_x 1
		.amdhsa_system_sgpr_workgroup_id_y 0
		.amdhsa_system_sgpr_workgroup_id_z 1
		.amdhsa_system_sgpr_workgroup_info 0
		.amdhsa_system_vgpr_workitem_id 1
		.amdhsa_next_free_vgpr 22
		.amdhsa_next_free_sgpr 52
		.amdhsa_accum_offset 24
		.amdhsa_reserve_vcc 1
		.amdhsa_float_round_mode_32 0
		.amdhsa_float_round_mode_16_64 0
		.amdhsa_float_denorm_mode_32 3
		.amdhsa_float_denorm_mode_16_64 3
		.amdhsa_dx10_clamp 1
		.amdhsa_ieee_mode 1
		.amdhsa_fp16_overflow 0
		.amdhsa_tg_split 0
		.amdhsa_exception_fp_ieee_invalid_op 0
		.amdhsa_exception_fp_denorm_src 0
		.amdhsa_exception_fp_ieee_div_zero 0
		.amdhsa_exception_fp_ieee_overflow 0
		.amdhsa_exception_fp_ieee_underflow 0
		.amdhsa_exception_fp_ieee_inexact 0
		.amdhsa_exception_int_div_zero 0
	.end_amdhsa_kernel
	.section	.text._ZL20rocblas_tbmvx_kernelILi64ELi16EPKfPfEv18rocblas_operation_bbiiT1_lllS4_T2_llli,"axG",@progbits,_ZL20rocblas_tbmvx_kernelILi64ELi16EPKfPfEv18rocblas_operation_bbiiT1_lllS4_T2_llli,comdat
.Lfunc_end3:
	.size	_ZL20rocblas_tbmvx_kernelILi64ELi16EPKfPfEv18rocblas_operation_bbiiT1_lllS4_T2_llli, .Lfunc_end3-_ZL20rocblas_tbmvx_kernelILi64ELi16EPKfPfEv18rocblas_operation_bbiiT1_lllS4_T2_llli
                                        ; -- End function
	.set _ZL20rocblas_tbmvx_kernelILi64ELi16EPKfPfEv18rocblas_operation_bbiiT1_lllS4_T2_llli.num_vgpr, 22
	.set _ZL20rocblas_tbmvx_kernelILi64ELi16EPKfPfEv18rocblas_operation_bbiiT1_lllS4_T2_llli.num_agpr, 0
	.set _ZL20rocblas_tbmvx_kernelILi64ELi16EPKfPfEv18rocblas_operation_bbiiT1_lllS4_T2_llli.numbered_sgpr, 52
	.set _ZL20rocblas_tbmvx_kernelILi64ELi16EPKfPfEv18rocblas_operation_bbiiT1_lllS4_T2_llli.num_named_barrier, 0
	.set _ZL20rocblas_tbmvx_kernelILi64ELi16EPKfPfEv18rocblas_operation_bbiiT1_lllS4_T2_llli.private_seg_size, 0
	.set _ZL20rocblas_tbmvx_kernelILi64ELi16EPKfPfEv18rocblas_operation_bbiiT1_lllS4_T2_llli.uses_vcc, 1
	.set _ZL20rocblas_tbmvx_kernelILi64ELi16EPKfPfEv18rocblas_operation_bbiiT1_lllS4_T2_llli.uses_flat_scratch, 0
	.set _ZL20rocblas_tbmvx_kernelILi64ELi16EPKfPfEv18rocblas_operation_bbiiT1_lllS4_T2_llli.has_dyn_sized_stack, 0
	.set _ZL20rocblas_tbmvx_kernelILi64ELi16EPKfPfEv18rocblas_operation_bbiiT1_lllS4_T2_llli.has_recursion, 0
	.set _ZL20rocblas_tbmvx_kernelILi64ELi16EPKfPfEv18rocblas_operation_bbiiT1_lllS4_T2_llli.has_indirect_call, 0
	.section	.AMDGPU.csdata,"",@progbits
; Kernel info:
; codeLenInByte = 1712
; TotalNumSgprs: 58
; NumVgprs: 22
; NumAgprs: 0
; TotalNumVgprs: 22
; ScratchSize: 0
; MemoryBound: 0
; FloatMode: 240
; IeeeMode: 1
; LDSByteSize: 4096 bytes/workgroup (compile time only)
; SGPRBlocks: 7
; VGPRBlocks: 2
; NumSGPRsForWavesPerEU: 58
; NumVGPRsForWavesPerEU: 22
; AccumOffset: 24
; Occupancy: 8
; WaveLimiterHint : 0
; COMPUTE_PGM_RSRC2:SCRATCH_EN: 0
; COMPUTE_PGM_RSRC2:USER_SGPR: 2
; COMPUTE_PGM_RSRC2:TRAP_HANDLER: 0
; COMPUTE_PGM_RSRC2:TGID_X_EN: 1
; COMPUTE_PGM_RSRC2:TGID_Y_EN: 0
; COMPUTE_PGM_RSRC2:TGID_Z_EN: 1
; COMPUTE_PGM_RSRC2:TIDIG_COMP_CNT: 1
; COMPUTE_PGM_RSRC3_GFX90A:ACCUM_OFFSET: 5
; COMPUTE_PGM_RSRC3_GFX90A:TG_SPLIT: 0
	.section	.text._ZL19rocblas_copy_kernelIlLi256EPdS0_EviT1_lT_lT2_lS2_li,"axG",@progbits,_ZL19rocblas_copy_kernelIlLi256EPdS0_EviT1_lT_lT2_lS2_li,comdat
	.globl	_ZL19rocblas_copy_kernelIlLi256EPdS0_EviT1_lT_lT2_lS2_li ; -- Begin function _ZL19rocblas_copy_kernelIlLi256EPdS0_EviT1_lT_lT2_lS2_li
	.p2align	8
	.type	_ZL19rocblas_copy_kernelIlLi256EPdS0_EviT1_lT_lT2_lS2_li,@function
_ZL19rocblas_copy_kernelIlLi256EPdS0_EviT1_lT_lT2_lS2_li: ; @_ZL19rocblas_copy_kernelIlLi256EPdS0_EviT1_lT_lT2_lS2_li
; %bb.0:
	s_load_dword s4, s[0:1], 0x0
	v_lshl_or_b32 v0, s2, 8, v0
	v_mov_b32_e32 v1, 0
	s_waitcnt lgkmcnt(0)
	s_ashr_i32 s5, s4, 31
	v_cmp_gt_i64_e32 vcc, s[4:5], v[0:1]
	s_and_saveexec_b64 s[4:5], vcc
	s_cbranch_execz .LBB4_2
; %bb.1:
	s_load_dwordx16 s[4:19], s[0:1], 0x8
	s_waitcnt lgkmcnt(0)
	s_mul_i32 s1, s19, s3
	s_mul_hi_u32 s2, s18, s3
	s_mul_i32 s0, s18, s3
	s_add_i32 s1, s2, s1
	s_lshl_b64 s[0:1], s[0:1], 3
	s_add_u32 s2, s12, s0
	s_addc_u32 s12, s13, s1
	s_lshl_b64 s[0:1], s[14:15], 3
	s_mul_i32 s11, s11, s3
	s_add_u32 s0, s2, s0
	s_mul_hi_u32 s2, s10, s3
	s_addc_u32 s1, s12, s1
	s_add_i32 s11, s2, s11
	s_mul_i32 s10, s10, s3
	s_lshl_b64 s[2:3], s[10:11], 3
	s_add_u32 s4, s4, s2
	s_addc_u32 s5, s5, s3
	s_lshl_b64 s[2:3], s[6:7], 3
	s_add_u32 s2, s4, s2
	s_addc_u32 s3, s5, s3
	v_mad_u64_u32 v[2:3], s[4:5], s8, v0, 0
	v_mov_b32_e32 v4, v3
	v_mad_u64_u32 v[4:5], s[4:5], s9, v0, v[4:5]
	v_mov_b32_e32 v3, v4
	v_lshl_add_u64 v[2:3], v[2:3], 3, s[2:3]
	global_load_dwordx2 v[2:3], v[2:3], off
	v_mad_u64_u32 v[4:5], s[2:3], s16, v0, 0
	v_mov_b32_e32 v6, v5
	v_mad_u64_u32 v[0:1], s[2:3], s17, v0, v[6:7]
	v_mov_b32_e32 v5, v0
	v_lshl_add_u64 v[0:1], v[4:5], 3, s[0:1]
	s_waitcnt vmcnt(0)
	global_store_dwordx2 v[0:1], v[2:3], off
.LBB4_2:
	s_endpgm
	.section	.rodata,"a",@progbits
	.p2align	6, 0x0
	.amdhsa_kernel _ZL19rocblas_copy_kernelIlLi256EPdS0_EviT1_lT_lT2_lS2_li
		.amdhsa_group_segment_fixed_size 0
		.amdhsa_private_segment_fixed_size 0
		.amdhsa_kernarg_size 76
		.amdhsa_user_sgpr_count 2
		.amdhsa_user_sgpr_dispatch_ptr 0
		.amdhsa_user_sgpr_queue_ptr 0
		.amdhsa_user_sgpr_kernarg_segment_ptr 1
		.amdhsa_user_sgpr_dispatch_id 0
		.amdhsa_user_sgpr_kernarg_preload_length 0
		.amdhsa_user_sgpr_kernarg_preload_offset 0
		.amdhsa_user_sgpr_private_segment_size 0
		.amdhsa_uses_dynamic_stack 0
		.amdhsa_enable_private_segment 0
		.amdhsa_system_sgpr_workgroup_id_x 1
		.amdhsa_system_sgpr_workgroup_id_y 0
		.amdhsa_system_sgpr_workgroup_id_z 1
		.amdhsa_system_sgpr_workgroup_info 0
		.amdhsa_system_vgpr_workitem_id 0
		.amdhsa_next_free_vgpr 8
		.amdhsa_next_free_sgpr 20
		.amdhsa_accum_offset 8
		.amdhsa_reserve_vcc 1
		.amdhsa_float_round_mode_32 0
		.amdhsa_float_round_mode_16_64 0
		.amdhsa_float_denorm_mode_32 3
		.amdhsa_float_denorm_mode_16_64 3
		.amdhsa_dx10_clamp 1
		.amdhsa_ieee_mode 1
		.amdhsa_fp16_overflow 0
		.amdhsa_tg_split 0
		.amdhsa_exception_fp_ieee_invalid_op 0
		.amdhsa_exception_fp_denorm_src 0
		.amdhsa_exception_fp_ieee_div_zero 0
		.amdhsa_exception_fp_ieee_overflow 0
		.amdhsa_exception_fp_ieee_underflow 0
		.amdhsa_exception_fp_ieee_inexact 0
		.amdhsa_exception_int_div_zero 0
	.end_amdhsa_kernel
	.section	.text._ZL19rocblas_copy_kernelIlLi256EPdS0_EviT1_lT_lT2_lS2_li,"axG",@progbits,_ZL19rocblas_copy_kernelIlLi256EPdS0_EviT1_lT_lT2_lS2_li,comdat
.Lfunc_end4:
	.size	_ZL19rocblas_copy_kernelIlLi256EPdS0_EviT1_lT_lT2_lS2_li, .Lfunc_end4-_ZL19rocblas_copy_kernelIlLi256EPdS0_EviT1_lT_lT2_lS2_li
                                        ; -- End function
	.set _ZL19rocblas_copy_kernelIlLi256EPdS0_EviT1_lT_lT2_lS2_li.num_vgpr, 8
	.set _ZL19rocblas_copy_kernelIlLi256EPdS0_EviT1_lT_lT2_lS2_li.num_agpr, 0
	.set _ZL19rocblas_copy_kernelIlLi256EPdS0_EviT1_lT_lT2_lS2_li.numbered_sgpr, 20
	.set _ZL19rocblas_copy_kernelIlLi256EPdS0_EviT1_lT_lT2_lS2_li.num_named_barrier, 0
	.set _ZL19rocblas_copy_kernelIlLi256EPdS0_EviT1_lT_lT2_lS2_li.private_seg_size, 0
	.set _ZL19rocblas_copy_kernelIlLi256EPdS0_EviT1_lT_lT2_lS2_li.uses_vcc, 1
	.set _ZL19rocblas_copy_kernelIlLi256EPdS0_EviT1_lT_lT2_lS2_li.uses_flat_scratch, 0
	.set _ZL19rocblas_copy_kernelIlLi256EPdS0_EviT1_lT_lT2_lS2_li.has_dyn_sized_stack, 0
	.set _ZL19rocblas_copy_kernelIlLi256EPdS0_EviT1_lT_lT2_lS2_li.has_recursion, 0
	.set _ZL19rocblas_copy_kernelIlLi256EPdS0_EviT1_lT_lT2_lS2_li.has_indirect_call, 0
	.section	.AMDGPU.csdata,"",@progbits
; Kernel info:
; codeLenInByte = 220
; TotalNumSgprs: 26
; NumVgprs: 8
; NumAgprs: 0
; TotalNumVgprs: 8
; ScratchSize: 0
; MemoryBound: 0
; FloatMode: 240
; IeeeMode: 1
; LDSByteSize: 0 bytes/workgroup (compile time only)
; SGPRBlocks: 3
; VGPRBlocks: 0
; NumSGPRsForWavesPerEU: 26
; NumVGPRsForWavesPerEU: 8
; AccumOffset: 8
; Occupancy: 8
; WaveLimiterHint : 0
; COMPUTE_PGM_RSRC2:SCRATCH_EN: 0
; COMPUTE_PGM_RSRC2:USER_SGPR: 2
; COMPUTE_PGM_RSRC2:TRAP_HANDLER: 0
; COMPUTE_PGM_RSRC2:TGID_X_EN: 1
; COMPUTE_PGM_RSRC2:TGID_Y_EN: 0
; COMPUTE_PGM_RSRC2:TGID_Z_EN: 1
; COMPUTE_PGM_RSRC2:TIDIG_COMP_CNT: 0
; COMPUTE_PGM_RSRC3_GFX90A:ACCUM_OFFSET: 1
; COMPUTE_PGM_RSRC3_GFX90A:TG_SPLIT: 0
	.section	.text._ZL19rocblas_copy_kernelIiLi256EPdS0_EviT1_lT_lT2_lS2_li,"axG",@progbits,_ZL19rocblas_copy_kernelIiLi256EPdS0_EviT1_lT_lT2_lS2_li,comdat
	.globl	_ZL19rocblas_copy_kernelIiLi256EPdS0_EviT1_lT_lT2_lS2_li ; -- Begin function _ZL19rocblas_copy_kernelIiLi256EPdS0_EviT1_lT_lT2_lS2_li
	.p2align	8
	.type	_ZL19rocblas_copy_kernelIiLi256EPdS0_EviT1_lT_lT2_lS2_li,@function
_ZL19rocblas_copy_kernelIiLi256EPdS0_EviT1_lT_lT2_lS2_li: ; @_ZL19rocblas_copy_kernelIiLi256EPdS0_EviT1_lT_lT2_lS2_li
; %bb.0:
	s_load_dword s4, s[0:1], 0x0
	v_lshl_or_b32 v0, s2, 8, v0
	v_mov_b32_e32 v1, 0
	s_waitcnt lgkmcnt(0)
	s_ashr_i32 s5, s4, 31
	v_cmp_gt_i64_e32 vcc, s[4:5], v[0:1]
	s_and_saveexec_b64 s[4:5], vcc
	s_cbranch_execz .LBB5_2
; %bb.1:
	s_load_dwordx4 s[4:7], s[0:1], 0x8
	s_load_dword s16, s[0:1], 0x18
	s_load_dword s17, s[0:1], 0x38
	s_load_dwordx2 s[12:13], s[0:1], 0x40
	s_load_dwordx4 s[8:11], s[0:1], 0x20
	s_load_dwordx2 s[14:15], s[0:1], 0x30
	s_waitcnt lgkmcnt(0)
	s_ashr_i32 s18, s16, 31
	s_ashr_i32 s19, s17, 31
	s_mul_i32 s0, s13, s3
	s_mul_hi_u32 s1, s12, s3
	s_add_i32 s1, s1, s0
	s_mul_i32 s0, s12, s3
	s_lshl_b64 s[0:1], s[0:1], 3
	s_add_u32 s2, s10, s0
	s_addc_u32 s10, s11, s1
	s_lshl_b64 s[0:1], s[14:15], 3
	s_add_u32 s0, s2, s0
	s_mul_i32 s2, s9, s3
	s_mul_hi_u32 s9, s8, s3
	s_addc_u32 s1, s10, s1
	s_add_i32 s9, s9, s2
	s_mul_i32 s8, s8, s3
	s_lshl_b64 s[2:3], s[8:9], 3
	s_add_u32 s4, s4, s2
	s_addc_u32 s5, s5, s3
	s_lshl_b64 s[2:3], s[6:7], 3
	s_add_u32 s2, s4, s2
	s_addc_u32 s3, s5, s3
	v_mad_u64_u32 v[2:3], s[4:5], s16, v0, 0
	v_mov_b32_e32 v4, v3
	v_mad_u64_u32 v[4:5], s[4:5], s18, v0, v[4:5]
	v_mov_b32_e32 v3, v4
	v_lshl_add_u64 v[2:3], v[2:3], 3, s[2:3]
	global_load_dwordx2 v[2:3], v[2:3], off
	v_mad_u64_u32 v[4:5], s[2:3], s17, v0, 0
	v_mov_b32_e32 v6, v5
	v_mad_u64_u32 v[0:1], s[2:3], s19, v0, v[6:7]
	v_mov_b32_e32 v5, v0
	v_lshl_add_u64 v[0:1], v[4:5], 3, s[0:1]
	s_waitcnt vmcnt(0)
	global_store_dwordx2 v[0:1], v[2:3], off
.LBB5_2:
	s_endpgm
	.section	.rodata,"a",@progbits
	.p2align	6, 0x0
	.amdhsa_kernel _ZL19rocblas_copy_kernelIiLi256EPdS0_EviT1_lT_lT2_lS2_li
		.amdhsa_group_segment_fixed_size 0
		.amdhsa_private_segment_fixed_size 0
		.amdhsa_kernarg_size 76
		.amdhsa_user_sgpr_count 2
		.amdhsa_user_sgpr_dispatch_ptr 0
		.amdhsa_user_sgpr_queue_ptr 0
		.amdhsa_user_sgpr_kernarg_segment_ptr 1
		.amdhsa_user_sgpr_dispatch_id 0
		.amdhsa_user_sgpr_kernarg_preload_length 0
		.amdhsa_user_sgpr_kernarg_preload_offset 0
		.amdhsa_user_sgpr_private_segment_size 0
		.amdhsa_uses_dynamic_stack 0
		.amdhsa_enable_private_segment 0
		.amdhsa_system_sgpr_workgroup_id_x 1
		.amdhsa_system_sgpr_workgroup_id_y 0
		.amdhsa_system_sgpr_workgroup_id_z 1
		.amdhsa_system_sgpr_workgroup_info 0
		.amdhsa_system_vgpr_workitem_id 0
		.amdhsa_next_free_vgpr 8
		.amdhsa_next_free_sgpr 20
		.amdhsa_accum_offset 8
		.amdhsa_reserve_vcc 1
		.amdhsa_float_round_mode_32 0
		.amdhsa_float_round_mode_16_64 0
		.amdhsa_float_denorm_mode_32 3
		.amdhsa_float_denorm_mode_16_64 3
		.amdhsa_dx10_clamp 1
		.amdhsa_ieee_mode 1
		.amdhsa_fp16_overflow 0
		.amdhsa_tg_split 0
		.amdhsa_exception_fp_ieee_invalid_op 0
		.amdhsa_exception_fp_denorm_src 0
		.amdhsa_exception_fp_ieee_div_zero 0
		.amdhsa_exception_fp_ieee_overflow 0
		.amdhsa_exception_fp_ieee_underflow 0
		.amdhsa_exception_fp_ieee_inexact 0
		.amdhsa_exception_int_div_zero 0
	.end_amdhsa_kernel
	.section	.text._ZL19rocblas_copy_kernelIiLi256EPdS0_EviT1_lT_lT2_lS2_li,"axG",@progbits,_ZL19rocblas_copy_kernelIiLi256EPdS0_EviT1_lT_lT2_lS2_li,comdat
.Lfunc_end5:
	.size	_ZL19rocblas_copy_kernelIiLi256EPdS0_EviT1_lT_lT2_lS2_li, .Lfunc_end5-_ZL19rocblas_copy_kernelIiLi256EPdS0_EviT1_lT_lT2_lS2_li
                                        ; -- End function
	.set _ZL19rocblas_copy_kernelIiLi256EPdS0_EviT1_lT_lT2_lS2_li.num_vgpr, 8
	.set _ZL19rocblas_copy_kernelIiLi256EPdS0_EviT1_lT_lT2_lS2_li.num_agpr, 0
	.set _ZL19rocblas_copy_kernelIiLi256EPdS0_EviT1_lT_lT2_lS2_li.numbered_sgpr, 20
	.set _ZL19rocblas_copy_kernelIiLi256EPdS0_EviT1_lT_lT2_lS2_li.num_named_barrier, 0
	.set _ZL19rocblas_copy_kernelIiLi256EPdS0_EviT1_lT_lT2_lS2_li.private_seg_size, 0
	.set _ZL19rocblas_copy_kernelIiLi256EPdS0_EviT1_lT_lT2_lS2_li.uses_vcc, 1
	.set _ZL19rocblas_copy_kernelIiLi256EPdS0_EviT1_lT_lT2_lS2_li.uses_flat_scratch, 0
	.set _ZL19rocblas_copy_kernelIiLi256EPdS0_EviT1_lT_lT2_lS2_li.has_dyn_sized_stack, 0
	.set _ZL19rocblas_copy_kernelIiLi256EPdS0_EviT1_lT_lT2_lS2_li.has_recursion, 0
	.set _ZL19rocblas_copy_kernelIiLi256EPdS0_EviT1_lT_lT2_lS2_li.has_indirect_call, 0
	.section	.AMDGPU.csdata,"",@progbits
; Kernel info:
; codeLenInByte = 268
; TotalNumSgprs: 26
; NumVgprs: 8
; NumAgprs: 0
; TotalNumVgprs: 8
; ScratchSize: 0
; MemoryBound: 0
; FloatMode: 240
; IeeeMode: 1
; LDSByteSize: 0 bytes/workgroup (compile time only)
; SGPRBlocks: 3
; VGPRBlocks: 0
; NumSGPRsForWavesPerEU: 26
; NumVGPRsForWavesPerEU: 8
; AccumOffset: 8
; Occupancy: 8
; WaveLimiterHint : 0
; COMPUTE_PGM_RSRC2:SCRATCH_EN: 0
; COMPUTE_PGM_RSRC2:USER_SGPR: 2
; COMPUTE_PGM_RSRC2:TRAP_HANDLER: 0
; COMPUTE_PGM_RSRC2:TGID_X_EN: 1
; COMPUTE_PGM_RSRC2:TGID_Y_EN: 0
; COMPUTE_PGM_RSRC2:TGID_Z_EN: 1
; COMPUTE_PGM_RSRC2:TIDIG_COMP_CNT: 0
; COMPUTE_PGM_RSRC3_GFX90A:ACCUM_OFFSET: 1
; COMPUTE_PGM_RSRC3_GFX90A:TG_SPLIT: 0
	.section	.text._ZL20rocblas_tbmvx_kernelILi64ELi16EPKdPdEv18rocblas_operation_bbiiT1_lllS4_T2_llli,"axG",@progbits,_ZL20rocblas_tbmvx_kernelILi64ELi16EPKdPdEv18rocblas_operation_bbiiT1_lllS4_T2_llli,comdat
	.globl	_ZL20rocblas_tbmvx_kernelILi64ELi16EPKdPdEv18rocblas_operation_bbiiT1_lllS4_T2_llli ; -- Begin function _ZL20rocblas_tbmvx_kernelILi64ELi16EPKdPdEv18rocblas_operation_bbiiT1_lllS4_T2_llli
	.p2align	8
	.type	_ZL20rocblas_tbmvx_kernelILi64ELi16EPKdPdEv18rocblas_operation_bbiiT1_lllS4_T2_llli,@function
_ZL20rocblas_tbmvx_kernelILi64ELi16EPKdPdEv18rocblas_operation_bbiiT1_lllS4_T2_llli: ; @_ZL20rocblas_tbmvx_kernelILi64ELi16EPKdPdEv18rocblas_operation_bbiiT1_lllS4_T2_llli
; %bb.0:
	s_load_dwordx2 s[4:5], s[0:1], 0x6c
	s_waitcnt lgkmcnt(0)
	s_lshr_b32 s7, s4, 16
	s_and_b32 s6, s4, 0xffff
	s_and_b32 s5, s5, 0xffff
	s_mul_i32 s4, s7, s6
	s_mul_i32 s4, s4, s5
	s_cmpk_lg_i32 s4, 0x400
	s_cbranch_scc1 .LBB6_60
; %bb.1:
	s_load_dwordx2 s[36:37], s[0:1], 0x0
	s_load_dwordx4 s[24:27], s[0:1], 0x4
	s_load_dwordx16 s[8:23], s[0:1], 0x10
	v_and_b32_e32 v1, 0x3ff, v0
	v_bfe_u32 v0, v0, 10, 10
	s_waitcnt lgkmcnt(0)
	s_bitcmp1_b32 s37, 0
	s_cselect_b64 s[28:29], -1, 0
	s_bitcmp1_b32 s24, 8
	s_mul_i32 s7, s15, s3
	s_mul_hi_u32 s15, s14, s3
	s_cselect_b64 s[30:31], -1, 0
	s_add_i32 s15, s15, s7
	s_ashr_i32 s7, s25, 31
	s_mul_hi_u32 s24, s25, s3
	s_mul_i32 s7, s7, s3
	v_mad_u32_u24 v13, v0, s6, v1
	s_add_i32 s35, s24, s7
	v_and_b32_e32 v17, 63, v13
	s_lshl_b32 s2, s2, 6
	s_mov_b64 s[4:5], -1
	s_mul_i32 s14, s14, s3
	s_mul_i32 s34, s25, s3
	v_lshrrev_b32_e32 v0, 6, v13
	s_cmpk_lg_i32 s36, 0x6f
	v_or_b32_e32 v4, s2, v17
                                        ; implicit-def: $vgpr2_vgpr3
	s_cbranch_scc0 .LBB6_32
; %bb.2:
	v_mov_b32_e32 v7, 0
	v_mov_b32_e32 v1, v7
	v_cmp_gt_i64_e32 vcc, s[12:13], v[0:1]
	v_cmp_ge_i32_e64 s[4:5], s26, v0
	s_and_b64 s[4:5], s[4:5], vcc
	v_mov_b64_e32 v[2:3], 0
	s_and_saveexec_b64 s[36:37], s[4:5]
	s_cbranch_execz .LBB6_31
; %bb.3:
	s_xor_b64 s[38:39], s[28:29], -1
	s_xor_b64 s[40:41], s[30:31], -1
	s_lshl_b64 s[6:7], s[14:15], 3
	s_add_u32 s4, s8, s6
	s_addc_u32 s5, s9, s7
	s_lshl_b64 s[44:45], s[10:11], 3
	s_add_u32 s46, s4, s44
	v_ashrrev_i32_e32 v5, 31, v4
	s_addc_u32 s47, s5, s45
	s_lshl_b64 s[4:5], s[34:35], 3
	v_mul_lo_u32 v6, s13, v4
	v_mul_lo_u32 v8, s12, v5
	v_mad_u64_u32 v[2:3], s[48:49], s12, v4, 0
	s_add_u32 s42, s16, s4
	v_add3_u32 v3, v3, v8, v6
	v_add_u32_e32 v12, s2, v17
	s_addc_u32 s43, s17, s5
	v_lshl_add_u64 v[8:9], v[2:3], 3, s[46:47]
	v_ashrrev_i32_e32 v2, 31, v12
	v_mul_lo_u32 v6, s12, v2
	v_mul_lo_u32 v14, s13, v12
	v_mad_u64_u32 v[2:3], s[46:47], s12, v12, 0
	s_add_u32 s6, s44, s6
	v_add3_u32 v3, v3, v6, v14
	s_addc_u32 s7, s45, s7
	v_lshl_add_u64 v[2:3], v[2:3], 3, s[6:7]
	v_lshlrev_b32_e32 v6, 3, v0
	v_lshl_add_u64 v[2:3], v[2:3], 0, v[6:7]
	v_cmp_gt_i32_e64 s[4:5], s25, v4
	v_xad_u32 v22, v4, -1, s25
	v_lshl_add_u64 v[10:11], v[4:5], 3, s[42:43]
	v_sub_u32_e32 v5, s26, v4
	v_lshl_add_u64 v[14:15], s[8:9], 0, v[2:3]
	v_subrev_u32_e32 v16, s26, v12
	v_mov_b64_e32 v[2:3], 0
	s_mov_b64 s[44:45], 0
	s_mov_b64 s[46:47], 0x80
	v_mov_b64_e32 v[18:19], v[0:1]
	s_branch .LBB6_9
.LBB6_4:                                ;   in Loop: Header=BB6_9 Depth=1
	v_mov_b64_e32 v[2:3], v[20:21]
.LBB6_5:                                ;   in Loop: Header=BB6_9 Depth=1
	s_or_b64 exec, exec, s[50:51]
.LBB6_6:                                ;   in Loop: Header=BB6_9 Depth=1
	s_or_b64 exec, exec, s[6:7]
	v_mov_b64_e32 v[20:21], v[2:3]
.LBB6_7:                                ;   in Loop: Header=BB6_9 Depth=1
	v_mov_b64_e32 v[2:3], v[20:21]
.LBB6_8:                                ;   in Loop: Header=BB6_9 Depth=1
	s_or_b64 exec, exec, s[48:49]
	v_lshl_add_u64 v[18:19], v[18:19], 0, 16
	v_mov_b32_e32 v6, v18
	v_cmp_le_u64_e32 vcc, s[12:13], v[6:7]
	v_cmp_lt_i32_e64 s[6:7], s26, v18
	s_or_b64 s[6:7], s[6:7], vcc
	s_and_b64 s[6:7], exec, s[6:7]
	s_or_b64 s[44:45], s[6:7], s[44:45]
	v_lshl_add_u64 v[14:15], v[14:15], 0, s[46:47]
	s_andn2_b64 exec, exec, s[44:45]
	s_cbranch_execz .LBB6_30
.LBB6_9:                                ; =>This Inner Loop Header: Depth=1
	s_and_saveexec_b64 s[48:49], s[4:5]
	s_cbranch_execz .LBB6_8
; %bb.10:                               ;   in Loop: Header=BB6_9 Depth=1
	s_mov_b64 s[6:7], -1
	s_and_b64 vcc, exec, s[38:39]
                                        ; implicit-def: $vgpr20_vgpr21
	s_cbranch_vccz .LBB6_21
; %bb.11:                               ;   in Loop: Header=BB6_9 Depth=1
	v_cmp_lt_i32_e32 vcc, v22, v18
	v_cmp_eq_u64_e64 s[6:7], 0, v[18:19]
	s_or_b64 s[6:7], s[6:7], vcc
                                        ; implicit-def: $vgpr20_vgpr21
	s_and_saveexec_b64 s[50:51], s[6:7]
	s_xor_b64 s[6:7], exec, s[50:51]
	s_cbranch_execz .LBB6_18
; %bb.12:                               ;   in Loop: Header=BB6_9 Depth=1
	v_cmp_eq_u64_e32 vcc, 0, v[18:19]
	v_mov_b64_e32 v[20:21], v[2:3]
	s_and_saveexec_b64 s[50:51], vcc
	s_cbranch_execz .LBB6_17
; %bb.13:                               ;   in Loop: Header=BB6_9 Depth=1
	s_mov_b64 s[52:53], -1
	s_and_b64 vcc, exec, s[40:41]
                                        ; implicit-def: $vgpr20_vgpr21
	s_cbranch_vccz .LBB6_15
; %bb.14:                               ;   in Loop: Header=BB6_9 Depth=1
	global_load_dwordx2 v[20:21], v[8:9], off
	global_load_dwordx2 v[24:25], v[10:11], off
	s_mov_b64 s[52:53], 0
	s_waitcnt vmcnt(0)
	v_fma_f64 v[20:21], v[20:21], v[24:25], v[2:3]
.LBB6_15:                               ;   in Loop: Header=BB6_9 Depth=1
	s_andn2_b64 vcc, exec, s[52:53]
	s_cbranch_vccnz .LBB6_17
; %bb.16:                               ;   in Loop: Header=BB6_9 Depth=1
	global_load_dwordx2 v[20:21], v[10:11], off
	s_waitcnt vmcnt(0)
	v_add_f64 v[20:21], v[2:3], v[20:21]
.LBB6_17:                               ;   in Loop: Header=BB6_9 Depth=1
	s_or_b64 exec, exec, s[50:51]
.LBB6_18:                               ;   in Loop: Header=BB6_9 Depth=1
	s_andn2_saveexec_b64 s[6:7], s[6:7]
	s_cbranch_execz .LBB6_20
; %bb.19:                               ;   in Loop: Header=BB6_9 Depth=1
	v_add_u32_e32 v24, v12, v18
	v_ashrrev_i32_e32 v25, 31, v24
	v_lshl_add_u64 v[24:25], v[24:25], 3, s[42:43]
	global_load_dwordx2 v[20:21], v[14:15], off
	s_nop 0
	global_load_dwordx2 v[24:25], v[24:25], off
	s_waitcnt vmcnt(0)
	v_fma_f64 v[20:21], v[20:21], v[24:25], v[2:3]
.LBB6_20:                               ;   in Loop: Header=BB6_9 Depth=1
	s_or_b64 exec, exec, s[6:7]
	s_mov_b64 s[6:7], 0
.LBB6_21:                               ;   in Loop: Header=BB6_9 Depth=1
	s_andn2_b64 vcc, exec, s[6:7]
	s_cbranch_vccnz .LBB6_7
; %bb.22:                               ;   in Loop: Header=BB6_9 Depth=1
	v_cmp_gt_i32_e32 vcc, s26, v18
	v_cmp_le_i32_e64 s[6:7], v5, v18
	s_and_b64 s[6:7], vcc, s[6:7]
	s_and_saveexec_b64 s[50:51], s[6:7]
	s_xor_b64 s[6:7], exec, s[50:51]
	s_cbranch_execz .LBB6_24
; %bb.23:                               ;   in Loop: Header=BB6_9 Depth=1
	v_add_u32_e32 v6, v16, v18
	v_lshl_add_u64 v[24:25], v[6:7], 3, s[42:43]
	global_load_dwordx2 v[20:21], v[14:15], off
	s_nop 0
	global_load_dwordx2 v[24:25], v[24:25], off
	s_waitcnt vmcnt(0)
	v_fmac_f64_e32 v[2:3], v[20:21], v[24:25]
.LBB6_24:                               ;   in Loop: Header=BB6_9 Depth=1
	s_andn2_saveexec_b64 s[6:7], s[6:7]
	s_cbranch_execz .LBB6_6
; %bb.25:                               ;   in Loop: Header=BB6_9 Depth=1
	v_cmp_eq_u32_e32 vcc, s26, v18
	s_and_saveexec_b64 s[50:51], vcc
	s_cbranch_execz .LBB6_5
; %bb.26:                               ;   in Loop: Header=BB6_9 Depth=1
	s_mov_b64 s[52:53], -1
	s_and_b64 vcc, exec, s[40:41]
                                        ; implicit-def: $vgpr20_vgpr21
	s_cbranch_vccz .LBB6_28
; %bb.27:                               ;   in Loop: Header=BB6_9 Depth=1
	global_load_dwordx2 v[20:21], v[14:15], off
	global_load_dwordx2 v[24:25], v[10:11], off
	s_mov_b64 s[52:53], 0
	s_waitcnt vmcnt(0)
	v_fma_f64 v[20:21], v[20:21], v[24:25], v[2:3]
.LBB6_28:                               ;   in Loop: Header=BB6_9 Depth=1
	s_andn2_b64 vcc, exec, s[52:53]
	s_cbranch_vccnz .LBB6_4
; %bb.29:                               ;   in Loop: Header=BB6_9 Depth=1
	global_load_dwordx2 v[20:21], v[10:11], off
	s_waitcnt vmcnt(0)
	v_add_f64 v[20:21], v[2:3], v[20:21]
	s_branch .LBB6_4
.LBB6_30:
	s_or_b64 exec, exec, s[44:45]
.LBB6_31:
	s_or_b64 exec, exec, s[36:37]
	s_mov_b64 s[4:5], 0
.LBB6_32:
	s_andn2_b64 vcc, exec, s[4:5]
	s_cbranch_vccnz .LBB6_58
; %bb.33:
	v_cmp_gt_i32_e32 vcc, s25, v0
	v_mov_b64_e32 v[2:3], 0
	s_and_saveexec_b64 s[36:37], vcc
	s_cbranch_execz .LBB6_57
; %bb.34:
	s_and_b64 s[4:5], s[28:29], exec
	s_cselect_b32 s24, s26, 0
	s_and_b64 s[4:5], s[28:29], s[30:31]
	s_xor_b64 s[38:39], s[4:5], -1
	s_xor_b64 s[4:5], s[30:31], -1
	s_cmp_lg_u32 s26, 0
	s_cselect_b64 s[30:31], -1, 0
	s_and_b64 s[28:29], s[28:29], s[30:31]
	s_nor_b64 s[4:5], s[28:29], s[4:5]
	s_ashr_i32 s27, s26, 31
	s_lshl_b64 s[28:29], s[34:35], 3
	s_add_u32 s16, s16, s28
	s_addc_u32 s17, s17, s29
	s_lshl_b64 s[14:15], s[14:15], 3
	s_lshl_b64 s[10:11], s[10:11], 3
	s_add_u32 s8, s8, s10
	v_cmp_gt_i32_e64 s[6:7], s25, v4
	v_lshlrev_b32_e32 v4, 3, v0
	v_mov_b32_e32 v5, 0
	s_addc_u32 s9, s9, s11
	v_lshl_add_u64 v[6:7], s[16:17], 0, v[4:5]
	v_mad_u64_u32 v[2:3], s[16:17], s12, v0, 0
	s_add_u32 s8, s8, s14
	v_mov_b32_e32 v4, v3
	s_addc_u32 s9, s9, s15
	s_add_i32 s24, s24, s2
	v_mad_u64_u32 v[8:9], s[16:17], s13, v0, v[4:5]
	v_add_u32_e32 v1, s24, v17
	v_mov_b32_e32 v3, v8
	v_sub_u32_e32 v4, v1, v0
	v_cndmask_b32_e64 v1, 0, 1, s[4:5]
	v_lshl_add_u64 v[8:9], v[2:3], 3, s[8:9]
	s_lshl_b64 s[10:11], s[12:13], 7
	s_lshl_b64 s[12:13], s[26:27], 3
	v_mov_b64_e32 v[2:3], 0
	s_mov_b64 s[14:15], 0
	v_cmp_ne_u32_e64 s[4:5], 1, v1
	s_mov_b64 s[16:17], 0x80
	s_branch .LBB6_37
.LBB6_35:                               ;   in Loop: Header=BB6_37 Depth=1
	s_or_b64 exec, exec, s[8:9]
.LBB6_36:                               ;   in Loop: Header=BB6_37 Depth=1
	s_or_b64 exec, exec, s[28:29]
	v_add_u32_e32 v0, 16, v0
	v_cmp_le_i32_e32 vcc, s25, v0
	v_lshl_add_u64 v[6:7], v[6:7], 0, s[16:17]
	v_lshl_add_u64 v[8:9], v[8:9], 0, s[10:11]
	s_or_b64 s[14:15], vcc, s[14:15]
	v_add_u32_e32 v4, -16, v4
	s_andn2_b64 exec, exec, s[14:15]
	s_cbranch_execz .LBB6_56
.LBB6_37:                               ; =>This Inner Loop Header: Depth=1
	s_and_saveexec_b64 s[28:29], s[6:7]
	s_cbranch_execz .LBB6_36
; %bb.38:                               ;   in Loop: Header=BB6_37 Depth=1
	v_cmp_le_i32_e32 vcc, s26, v4
	v_cmp_gt_i32_e64 s[8:9], 1, v4
	s_or_b64 s[8:9], vcc, s[8:9]
	s_and_saveexec_b64 s[30:31], s[8:9]
	s_xor_b64 s[8:9], exec, s[30:31]
	s_cbranch_execz .LBB6_54
; %bb.39:                               ;   in Loop: Header=BB6_37 Depth=1
	v_cmp_ne_u32_e32 vcc, 0, v4
	s_and_saveexec_b64 s[30:31], vcc
	s_xor_b64 s[30:31], exec, s[30:31]
	s_cbranch_execz .LBB6_47
; %bb.40:                               ;   in Loop: Header=BB6_37 Depth=1
	v_cmp_eq_u32_e32 vcc, s26, v4
	s_and_saveexec_b64 s[34:35], vcc
	s_cbranch_execz .LBB6_46
; %bb.41:                               ;   in Loop: Header=BB6_37 Depth=1
	s_mov_b64 s[40:41], -1
	s_and_b64 vcc, exec, s[38:39]
                                        ; implicit-def: $vgpr10_vgpr11
	s_cbranch_vccz .LBB6_43
; %bb.42:                               ;   in Loop: Header=BB6_37 Depth=1
	v_lshl_add_u64 v[10:11], v[8:9], 0, s[12:13]
	global_load_dwordx2 v[14:15], v[6:7], off
	global_load_dwordx2 v[16:17], v[10:11], off
	s_mov_b64 s[40:41], 0
	s_waitcnt vmcnt(0)
	v_fma_f64 v[10:11], v[16:17], v[14:15], v[2:3]
.LBB6_43:                               ;   in Loop: Header=BB6_37 Depth=1
	s_andn2_b64 vcc, exec, s[40:41]
	s_cbranch_vccnz .LBB6_45
; %bb.44:                               ;   in Loop: Header=BB6_37 Depth=1
	global_load_dwordx2 v[10:11], v[6:7], off
	s_waitcnt vmcnt(0)
	v_add_f64 v[10:11], v[2:3], v[10:11]
.LBB6_45:                               ;   in Loop: Header=BB6_37 Depth=1
	v_mov_b64_e32 v[2:3], v[10:11]
.LBB6_46:                               ;   in Loop: Header=BB6_37 Depth=1
	s_or_b64 exec, exec, s[34:35]
.LBB6_47:                               ;   in Loop: Header=BB6_37 Depth=1
	s_andn2_saveexec_b64 s[30:31], s[30:31]
	s_cbranch_execz .LBB6_53
; %bb.48:                               ;   in Loop: Header=BB6_37 Depth=1
	s_and_b64 vcc, exec, s[4:5]
	s_mov_b64 s[34:35], -1
                                        ; implicit-def: $vgpr10_vgpr11
	s_cbranch_vccnz .LBB6_50
; %bb.49:                               ;   in Loop: Header=BB6_37 Depth=1
	global_load_dwordx2 v[10:11], v[6:7], off
	s_mov_b64 s[34:35], 0
	s_waitcnt vmcnt(0)
	v_add_f64 v[10:11], v[2:3], v[10:11]
.LBB6_50:                               ;   in Loop: Header=BB6_37 Depth=1
	s_andn2_b64 vcc, exec, s[34:35]
	s_cbranch_vccnz .LBB6_52
; %bb.51:                               ;   in Loop: Header=BB6_37 Depth=1
	global_load_dwordx2 v[10:11], v[8:9], off
	global_load_dwordx2 v[14:15], v[6:7], off
	s_waitcnt vmcnt(0)
	v_fmac_f64_e32 v[2:3], v[10:11], v[14:15]
	v_mov_b64_e32 v[10:11], v[2:3]
.LBB6_52:                               ;   in Loop: Header=BB6_37 Depth=1
	v_mov_b64_e32 v[2:3], v[10:11]
.LBB6_53:                               ;   in Loop: Header=BB6_37 Depth=1
	s_or_b64 exec, exec, s[30:31]
.LBB6_54:                               ;   in Loop: Header=BB6_37 Depth=1
	s_andn2_saveexec_b64 s[8:9], s[8:9]
	s_cbranch_execz .LBB6_35
; %bb.55:                               ;   in Loop: Header=BB6_37 Depth=1
	v_lshl_add_u64 v[10:11], v[4:5], 3, v[8:9]
	global_load_dwordx2 v[14:15], v[10:11], off
	global_load_dwordx2 v[16:17], v[6:7], off
	s_waitcnt vmcnt(0)
	v_fmac_f64_e32 v[2:3], v[14:15], v[16:17]
	s_branch .LBB6_35
.LBB6_56:
	s_or_b64 exec, exec, s[14:15]
.LBB6_57:
	s_or_b64 exec, exec, s[36:37]
.LBB6_58:
	v_add_u32_e32 v1, s2, v13
	v_cmp_gt_u32_e32 vcc, 64, v13
	v_cmp_gt_i32_e64 s[4:5], s25, v1
	v_lshlrev_b32_e32 v0, 3, v13
	s_and_b64 s[4:5], vcc, s[4:5]
	ds_write_b64 v0, v[2:3]
	s_waitcnt lgkmcnt(0)
	s_barrier
	s_and_saveexec_b64 s[6:7], s[4:5]
	s_cbranch_execz .LBB6_60
; %bb.59:
	s_load_dwordx2 s[0:1], s[0:1], 0x50
	ds_read2st64_b64 v[2:5], v0 offset1:1
	ds_read2st64_b64 v[6:9], v0 offset0:2 offset1:3
	ds_read2st64_b64 v[10:13], v0 offset0:4 offset1:5
	s_waitcnt lgkmcnt(0)
	v_add_f64 v[2:3], v[2:3], v[4:5]
	v_add_f64 v[6:7], v[6:7], v[2:3]
	ds_read2st64_b64 v[2:5], v0 offset0:6 offset1:7
	v_add_f64 v[6:7], v[8:9], v[6:7]
	v_add_f64 v[10:11], v[10:11], v[6:7]
	ds_read2st64_b64 v[6:9], v0 offset0:8 offset1:9
	v_add_f64 v[10:11], v[12:13], v[10:11]
	s_waitcnt lgkmcnt(1)
	v_add_f64 v[2:3], v[2:3], v[10:11]
	v_add_f64 v[10:11], v[4:5], v[2:3]
	ds_read2st64_b64 v[2:5], v0 offset0:10 offset1:11
	s_waitcnt lgkmcnt(1)
	v_add_f64 v[6:7], v[6:7], v[10:11]
	ds_read2st64_b64 v[10:13], v0 offset0:12 offset1:13
	v_add_f64 v[14:15], v[8:9], v[6:7]
	ds_read2st64_b64 v[6:9], v0 offset0:14 offset1:15
	s_waitcnt lgkmcnt(2)
	v_add_f64 v[2:3], v[2:3], v[14:15]
	s_mul_i32 s1, s1, s3
	s_mul_hi_u32 s2, s0, s3
	v_add_f64 v[2:3], v[4:5], v[2:3]
	s_mul_i32 s0, s0, s3
	s_add_i32 s1, s2, s1
	s_waitcnt lgkmcnt(1)
	v_add_f64 v[2:3], v[10:11], v[2:3]
	s_lshl_b64 s[0:1], s[0:1], 3
	v_add_f64 v[2:3], v[12:13], v[2:3]
	s_add_u32 s2, s18, s0
	s_waitcnt lgkmcnt(0)
	v_add_f64 v[2:3], v[6:7], v[2:3]
	s_addc_u32 s3, s19, s1
	s_lshl_b64 s[0:1], s[20:21], 3
	v_add_f64 v[2:3], v[8:9], v[2:3]
	s_add_u32 s0, s2, s0
	ds_write_b64 v0, v[2:3]
	v_ashrrev_i32_e32 v0, 31, v1
	s_addc_u32 s1, s3, s1
	v_mul_lo_u32 v4, s23, v1
	v_mul_lo_u32 v5, s22, v0
	v_mad_u64_u32 v[0:1], s[2:3], s22, v1, 0
	v_add3_u32 v1, v1, v5, v4
	v_lshl_add_u64 v[0:1], v[0:1], 3, s[0:1]
	global_store_dwordx2 v[0:1], v[2:3], off
.LBB6_60:
	s_endpgm
	.section	.rodata,"a",@progbits
	.p2align	6, 0x0
	.amdhsa_kernel _ZL20rocblas_tbmvx_kernelILi64ELi16EPKdPdEv18rocblas_operation_bbiiT1_lllS4_T2_llli
		.amdhsa_group_segment_fixed_size 8192
		.amdhsa_private_segment_fixed_size 0
		.amdhsa_kernarg_size 352
		.amdhsa_user_sgpr_count 2
		.amdhsa_user_sgpr_dispatch_ptr 0
		.amdhsa_user_sgpr_queue_ptr 0
		.amdhsa_user_sgpr_kernarg_segment_ptr 1
		.amdhsa_user_sgpr_dispatch_id 0
		.amdhsa_user_sgpr_kernarg_preload_length 0
		.amdhsa_user_sgpr_kernarg_preload_offset 0
		.amdhsa_user_sgpr_private_segment_size 0
		.amdhsa_uses_dynamic_stack 0
		.amdhsa_enable_private_segment 0
		.amdhsa_system_sgpr_workgroup_id_x 1
		.amdhsa_system_sgpr_workgroup_id_y 0
		.amdhsa_system_sgpr_workgroup_id_z 1
		.amdhsa_system_sgpr_workgroup_info 0
		.amdhsa_system_vgpr_workitem_id 1
		.amdhsa_next_free_vgpr 26
		.amdhsa_next_free_sgpr 54
		.amdhsa_accum_offset 28
		.amdhsa_reserve_vcc 1
		.amdhsa_float_round_mode_32 0
		.amdhsa_float_round_mode_16_64 0
		.amdhsa_float_denorm_mode_32 3
		.amdhsa_float_denorm_mode_16_64 3
		.amdhsa_dx10_clamp 1
		.amdhsa_ieee_mode 1
		.amdhsa_fp16_overflow 0
		.amdhsa_tg_split 0
		.amdhsa_exception_fp_ieee_invalid_op 0
		.amdhsa_exception_fp_denorm_src 0
		.amdhsa_exception_fp_ieee_div_zero 0
		.amdhsa_exception_fp_ieee_overflow 0
		.amdhsa_exception_fp_ieee_underflow 0
		.amdhsa_exception_fp_ieee_inexact 0
		.amdhsa_exception_int_div_zero 0
	.end_amdhsa_kernel
	.section	.text._ZL20rocblas_tbmvx_kernelILi64ELi16EPKdPdEv18rocblas_operation_bbiiT1_lllS4_T2_llli,"axG",@progbits,_ZL20rocblas_tbmvx_kernelILi64ELi16EPKdPdEv18rocblas_operation_bbiiT1_lllS4_T2_llli,comdat
.Lfunc_end6:
	.size	_ZL20rocblas_tbmvx_kernelILi64ELi16EPKdPdEv18rocblas_operation_bbiiT1_lllS4_T2_llli, .Lfunc_end6-_ZL20rocblas_tbmvx_kernelILi64ELi16EPKdPdEv18rocblas_operation_bbiiT1_lllS4_T2_llli
                                        ; -- End function
	.set _ZL20rocblas_tbmvx_kernelILi64ELi16EPKdPdEv18rocblas_operation_bbiiT1_lllS4_T2_llli.num_vgpr, 26
	.set _ZL20rocblas_tbmvx_kernelILi64ELi16EPKdPdEv18rocblas_operation_bbiiT1_lllS4_T2_llli.num_agpr, 0
	.set _ZL20rocblas_tbmvx_kernelILi64ELi16EPKdPdEv18rocblas_operation_bbiiT1_lllS4_T2_llli.numbered_sgpr, 54
	.set _ZL20rocblas_tbmvx_kernelILi64ELi16EPKdPdEv18rocblas_operation_bbiiT1_lllS4_T2_llli.num_named_barrier, 0
	.set _ZL20rocblas_tbmvx_kernelILi64ELi16EPKdPdEv18rocblas_operation_bbiiT1_lllS4_T2_llli.private_seg_size, 0
	.set _ZL20rocblas_tbmvx_kernelILi64ELi16EPKdPdEv18rocblas_operation_bbiiT1_lllS4_T2_llli.uses_vcc, 1
	.set _ZL20rocblas_tbmvx_kernelILi64ELi16EPKdPdEv18rocblas_operation_bbiiT1_lllS4_T2_llli.uses_flat_scratch, 0
	.set _ZL20rocblas_tbmvx_kernelILi64ELi16EPKdPdEv18rocblas_operation_bbiiT1_lllS4_T2_llli.has_dyn_sized_stack, 0
	.set _ZL20rocblas_tbmvx_kernelILi64ELi16EPKdPdEv18rocblas_operation_bbiiT1_lllS4_T2_llli.has_recursion, 0
	.set _ZL20rocblas_tbmvx_kernelILi64ELi16EPKdPdEv18rocblas_operation_bbiiT1_lllS4_T2_llli.has_indirect_call, 0
	.section	.AMDGPU.csdata,"",@progbits
; Kernel info:
; codeLenInByte = 1820
; TotalNumSgprs: 60
; NumVgprs: 26
; NumAgprs: 0
; TotalNumVgprs: 26
; ScratchSize: 0
; MemoryBound: 1
; FloatMode: 240
; IeeeMode: 1
; LDSByteSize: 8192 bytes/workgroup (compile time only)
; SGPRBlocks: 7
; VGPRBlocks: 3
; NumSGPRsForWavesPerEU: 60
; NumVGPRsForWavesPerEU: 26
; AccumOffset: 28
; Occupancy: 8
; WaveLimiterHint : 0
; COMPUTE_PGM_RSRC2:SCRATCH_EN: 0
; COMPUTE_PGM_RSRC2:USER_SGPR: 2
; COMPUTE_PGM_RSRC2:TRAP_HANDLER: 0
; COMPUTE_PGM_RSRC2:TGID_X_EN: 1
; COMPUTE_PGM_RSRC2:TGID_Y_EN: 0
; COMPUTE_PGM_RSRC2:TGID_Z_EN: 1
; COMPUTE_PGM_RSRC2:TIDIG_COMP_CNT: 1
; COMPUTE_PGM_RSRC3_GFX90A:ACCUM_OFFSET: 6
; COMPUTE_PGM_RSRC3_GFX90A:TG_SPLIT: 0
	.section	.text._ZL19rocblas_copy_kernelIlLi256EP19rocblas_complex_numIfES2_EviT1_lT_lT2_lS4_li,"axG",@progbits,_ZL19rocblas_copy_kernelIlLi256EP19rocblas_complex_numIfES2_EviT1_lT_lT2_lS4_li,comdat
	.globl	_ZL19rocblas_copy_kernelIlLi256EP19rocblas_complex_numIfES2_EviT1_lT_lT2_lS4_li ; -- Begin function _ZL19rocblas_copy_kernelIlLi256EP19rocblas_complex_numIfES2_EviT1_lT_lT2_lS4_li
	.p2align	8
	.type	_ZL19rocblas_copy_kernelIlLi256EP19rocblas_complex_numIfES2_EviT1_lT_lT2_lS4_li,@function
_ZL19rocblas_copy_kernelIlLi256EP19rocblas_complex_numIfES2_EviT1_lT_lT2_lS4_li: ; @_ZL19rocblas_copy_kernelIlLi256EP19rocblas_complex_numIfES2_EviT1_lT_lT2_lS4_li
; %bb.0:
	s_load_dword s4, s[0:1], 0x0
	v_lshl_or_b32 v0, s2, 8, v0
	v_mov_b32_e32 v1, 0
	s_waitcnt lgkmcnt(0)
	s_ashr_i32 s5, s4, 31
	v_cmp_gt_i64_e32 vcc, s[4:5], v[0:1]
	s_and_saveexec_b64 s[4:5], vcc
	s_cbranch_execz .LBB7_2
; %bb.1:
	s_load_dwordx16 s[4:19], s[0:1], 0x8
	s_waitcnt lgkmcnt(0)
	s_mul_i32 s1, s19, s3
	s_mul_hi_u32 s2, s18, s3
	s_mul_i32 s0, s18, s3
	s_add_i32 s1, s2, s1
	s_lshl_b64 s[0:1], s[0:1], 3
	s_add_u32 s2, s12, s0
	s_addc_u32 s12, s13, s1
	s_lshl_b64 s[0:1], s[14:15], 3
	s_mul_i32 s11, s11, s3
	s_add_u32 s0, s2, s0
	s_mul_hi_u32 s2, s10, s3
	s_addc_u32 s1, s12, s1
	s_add_i32 s11, s2, s11
	s_mul_i32 s10, s10, s3
	s_lshl_b64 s[2:3], s[10:11], 3
	s_add_u32 s4, s4, s2
	s_addc_u32 s5, s5, s3
	s_lshl_b64 s[2:3], s[6:7], 3
	s_add_u32 s2, s4, s2
	s_addc_u32 s3, s5, s3
	v_mad_u64_u32 v[2:3], s[4:5], s8, v0, 0
	v_mov_b32_e32 v4, v3
	v_mad_u64_u32 v[4:5], s[4:5], s9, v0, v[4:5]
	v_mov_b32_e32 v3, v4
	v_lshl_add_u64 v[2:3], v[2:3], 3, s[2:3]
	global_load_dwordx2 v[2:3], v[2:3], off
	v_mad_u64_u32 v[4:5], s[2:3], s16, v0, 0
	v_mov_b32_e32 v6, v5
	v_mad_u64_u32 v[0:1], s[2:3], s17, v0, v[6:7]
	v_mov_b32_e32 v5, v0
	v_lshl_add_u64 v[0:1], v[4:5], 3, s[0:1]
	s_waitcnt vmcnt(0)
	global_store_dwordx2 v[0:1], v[2:3], off
.LBB7_2:
	s_endpgm
	.section	.rodata,"a",@progbits
	.p2align	6, 0x0
	.amdhsa_kernel _ZL19rocblas_copy_kernelIlLi256EP19rocblas_complex_numIfES2_EviT1_lT_lT2_lS4_li
		.amdhsa_group_segment_fixed_size 0
		.amdhsa_private_segment_fixed_size 0
		.amdhsa_kernarg_size 76
		.amdhsa_user_sgpr_count 2
		.amdhsa_user_sgpr_dispatch_ptr 0
		.amdhsa_user_sgpr_queue_ptr 0
		.amdhsa_user_sgpr_kernarg_segment_ptr 1
		.amdhsa_user_sgpr_dispatch_id 0
		.amdhsa_user_sgpr_kernarg_preload_length 0
		.amdhsa_user_sgpr_kernarg_preload_offset 0
		.amdhsa_user_sgpr_private_segment_size 0
		.amdhsa_uses_dynamic_stack 0
		.amdhsa_enable_private_segment 0
		.amdhsa_system_sgpr_workgroup_id_x 1
		.amdhsa_system_sgpr_workgroup_id_y 0
		.amdhsa_system_sgpr_workgroup_id_z 1
		.amdhsa_system_sgpr_workgroup_info 0
		.amdhsa_system_vgpr_workitem_id 0
		.amdhsa_next_free_vgpr 8
		.amdhsa_next_free_sgpr 20
		.amdhsa_accum_offset 8
		.amdhsa_reserve_vcc 1
		.amdhsa_float_round_mode_32 0
		.amdhsa_float_round_mode_16_64 0
		.amdhsa_float_denorm_mode_32 3
		.amdhsa_float_denorm_mode_16_64 3
		.amdhsa_dx10_clamp 1
		.amdhsa_ieee_mode 1
		.amdhsa_fp16_overflow 0
		.amdhsa_tg_split 0
		.amdhsa_exception_fp_ieee_invalid_op 0
		.amdhsa_exception_fp_denorm_src 0
		.amdhsa_exception_fp_ieee_div_zero 0
		.amdhsa_exception_fp_ieee_overflow 0
		.amdhsa_exception_fp_ieee_underflow 0
		.amdhsa_exception_fp_ieee_inexact 0
		.amdhsa_exception_int_div_zero 0
	.end_amdhsa_kernel
	.section	.text._ZL19rocblas_copy_kernelIlLi256EP19rocblas_complex_numIfES2_EviT1_lT_lT2_lS4_li,"axG",@progbits,_ZL19rocblas_copy_kernelIlLi256EP19rocblas_complex_numIfES2_EviT1_lT_lT2_lS4_li,comdat
.Lfunc_end7:
	.size	_ZL19rocblas_copy_kernelIlLi256EP19rocblas_complex_numIfES2_EviT1_lT_lT2_lS4_li, .Lfunc_end7-_ZL19rocblas_copy_kernelIlLi256EP19rocblas_complex_numIfES2_EviT1_lT_lT2_lS4_li
                                        ; -- End function
	.set _ZL19rocblas_copy_kernelIlLi256EP19rocblas_complex_numIfES2_EviT1_lT_lT2_lS4_li.num_vgpr, 8
	.set _ZL19rocblas_copy_kernelIlLi256EP19rocblas_complex_numIfES2_EviT1_lT_lT2_lS4_li.num_agpr, 0
	.set _ZL19rocblas_copy_kernelIlLi256EP19rocblas_complex_numIfES2_EviT1_lT_lT2_lS4_li.numbered_sgpr, 20
	.set _ZL19rocblas_copy_kernelIlLi256EP19rocblas_complex_numIfES2_EviT1_lT_lT2_lS4_li.num_named_barrier, 0
	.set _ZL19rocblas_copy_kernelIlLi256EP19rocblas_complex_numIfES2_EviT1_lT_lT2_lS4_li.private_seg_size, 0
	.set _ZL19rocblas_copy_kernelIlLi256EP19rocblas_complex_numIfES2_EviT1_lT_lT2_lS4_li.uses_vcc, 1
	.set _ZL19rocblas_copy_kernelIlLi256EP19rocblas_complex_numIfES2_EviT1_lT_lT2_lS4_li.uses_flat_scratch, 0
	.set _ZL19rocblas_copy_kernelIlLi256EP19rocblas_complex_numIfES2_EviT1_lT_lT2_lS4_li.has_dyn_sized_stack, 0
	.set _ZL19rocblas_copy_kernelIlLi256EP19rocblas_complex_numIfES2_EviT1_lT_lT2_lS4_li.has_recursion, 0
	.set _ZL19rocblas_copy_kernelIlLi256EP19rocblas_complex_numIfES2_EviT1_lT_lT2_lS4_li.has_indirect_call, 0
	.section	.AMDGPU.csdata,"",@progbits
; Kernel info:
; codeLenInByte = 220
; TotalNumSgprs: 26
; NumVgprs: 8
; NumAgprs: 0
; TotalNumVgprs: 8
; ScratchSize: 0
; MemoryBound: 0
; FloatMode: 240
; IeeeMode: 1
; LDSByteSize: 0 bytes/workgroup (compile time only)
; SGPRBlocks: 3
; VGPRBlocks: 0
; NumSGPRsForWavesPerEU: 26
; NumVGPRsForWavesPerEU: 8
; AccumOffset: 8
; Occupancy: 8
; WaveLimiterHint : 0
; COMPUTE_PGM_RSRC2:SCRATCH_EN: 0
; COMPUTE_PGM_RSRC2:USER_SGPR: 2
; COMPUTE_PGM_RSRC2:TRAP_HANDLER: 0
; COMPUTE_PGM_RSRC2:TGID_X_EN: 1
; COMPUTE_PGM_RSRC2:TGID_Y_EN: 0
; COMPUTE_PGM_RSRC2:TGID_Z_EN: 1
; COMPUTE_PGM_RSRC2:TIDIG_COMP_CNT: 0
; COMPUTE_PGM_RSRC3_GFX90A:ACCUM_OFFSET: 1
; COMPUTE_PGM_RSRC3_GFX90A:TG_SPLIT: 0
	.section	.text._ZL19rocblas_copy_kernelIiLi256EP19rocblas_complex_numIfES2_EviT1_lT_lT2_lS4_li,"axG",@progbits,_ZL19rocblas_copy_kernelIiLi256EP19rocblas_complex_numIfES2_EviT1_lT_lT2_lS4_li,comdat
	.globl	_ZL19rocblas_copy_kernelIiLi256EP19rocblas_complex_numIfES2_EviT1_lT_lT2_lS4_li ; -- Begin function _ZL19rocblas_copy_kernelIiLi256EP19rocblas_complex_numIfES2_EviT1_lT_lT2_lS4_li
	.p2align	8
	.type	_ZL19rocblas_copy_kernelIiLi256EP19rocblas_complex_numIfES2_EviT1_lT_lT2_lS4_li,@function
_ZL19rocblas_copy_kernelIiLi256EP19rocblas_complex_numIfES2_EviT1_lT_lT2_lS4_li: ; @_ZL19rocblas_copy_kernelIiLi256EP19rocblas_complex_numIfES2_EviT1_lT_lT2_lS4_li
; %bb.0:
	s_load_dword s4, s[0:1], 0x0
	v_lshl_or_b32 v0, s2, 8, v0
	v_mov_b32_e32 v1, 0
	s_waitcnt lgkmcnt(0)
	s_ashr_i32 s5, s4, 31
	v_cmp_gt_i64_e32 vcc, s[4:5], v[0:1]
	s_and_saveexec_b64 s[4:5], vcc
	s_cbranch_execz .LBB8_2
; %bb.1:
	s_load_dwordx4 s[4:7], s[0:1], 0x8
	s_load_dword s16, s[0:1], 0x18
	s_load_dword s17, s[0:1], 0x38
	s_load_dwordx2 s[12:13], s[0:1], 0x40
	s_load_dwordx4 s[8:11], s[0:1], 0x20
	s_load_dwordx2 s[14:15], s[0:1], 0x30
	s_waitcnt lgkmcnt(0)
	s_ashr_i32 s18, s16, 31
	s_ashr_i32 s19, s17, 31
	s_mul_i32 s0, s13, s3
	s_mul_hi_u32 s1, s12, s3
	s_add_i32 s1, s1, s0
	s_mul_i32 s0, s12, s3
	s_lshl_b64 s[0:1], s[0:1], 3
	s_add_u32 s2, s10, s0
	s_addc_u32 s10, s11, s1
	s_lshl_b64 s[0:1], s[14:15], 3
	s_add_u32 s0, s2, s0
	s_mul_i32 s2, s9, s3
	s_mul_hi_u32 s9, s8, s3
	s_addc_u32 s1, s10, s1
	s_add_i32 s9, s9, s2
	s_mul_i32 s8, s8, s3
	s_lshl_b64 s[2:3], s[8:9], 3
	s_add_u32 s4, s4, s2
	s_addc_u32 s5, s5, s3
	s_lshl_b64 s[2:3], s[6:7], 3
	s_add_u32 s2, s4, s2
	s_addc_u32 s3, s5, s3
	v_mad_u64_u32 v[2:3], s[4:5], s16, v0, 0
	v_mov_b32_e32 v4, v3
	v_mad_u64_u32 v[4:5], s[4:5], s18, v0, v[4:5]
	v_mov_b32_e32 v3, v4
	v_lshl_add_u64 v[2:3], v[2:3], 3, s[2:3]
	global_load_dwordx2 v[2:3], v[2:3], off
	v_mad_u64_u32 v[4:5], s[2:3], s17, v0, 0
	v_mov_b32_e32 v6, v5
	v_mad_u64_u32 v[0:1], s[2:3], s19, v0, v[6:7]
	v_mov_b32_e32 v5, v0
	v_lshl_add_u64 v[0:1], v[4:5], 3, s[0:1]
	s_waitcnt vmcnt(0)
	global_store_dwordx2 v[0:1], v[2:3], off
.LBB8_2:
	s_endpgm
	.section	.rodata,"a",@progbits
	.p2align	6, 0x0
	.amdhsa_kernel _ZL19rocblas_copy_kernelIiLi256EP19rocblas_complex_numIfES2_EviT1_lT_lT2_lS4_li
		.amdhsa_group_segment_fixed_size 0
		.amdhsa_private_segment_fixed_size 0
		.amdhsa_kernarg_size 76
		.amdhsa_user_sgpr_count 2
		.amdhsa_user_sgpr_dispatch_ptr 0
		.amdhsa_user_sgpr_queue_ptr 0
		.amdhsa_user_sgpr_kernarg_segment_ptr 1
		.amdhsa_user_sgpr_dispatch_id 0
		.amdhsa_user_sgpr_kernarg_preload_length 0
		.amdhsa_user_sgpr_kernarg_preload_offset 0
		.amdhsa_user_sgpr_private_segment_size 0
		.amdhsa_uses_dynamic_stack 0
		.amdhsa_enable_private_segment 0
		.amdhsa_system_sgpr_workgroup_id_x 1
		.amdhsa_system_sgpr_workgroup_id_y 0
		.amdhsa_system_sgpr_workgroup_id_z 1
		.amdhsa_system_sgpr_workgroup_info 0
		.amdhsa_system_vgpr_workitem_id 0
		.amdhsa_next_free_vgpr 8
		.amdhsa_next_free_sgpr 20
		.amdhsa_accum_offset 8
		.amdhsa_reserve_vcc 1
		.amdhsa_float_round_mode_32 0
		.amdhsa_float_round_mode_16_64 0
		.amdhsa_float_denorm_mode_32 3
		.amdhsa_float_denorm_mode_16_64 3
		.amdhsa_dx10_clamp 1
		.amdhsa_ieee_mode 1
		.amdhsa_fp16_overflow 0
		.amdhsa_tg_split 0
		.amdhsa_exception_fp_ieee_invalid_op 0
		.amdhsa_exception_fp_denorm_src 0
		.amdhsa_exception_fp_ieee_div_zero 0
		.amdhsa_exception_fp_ieee_overflow 0
		.amdhsa_exception_fp_ieee_underflow 0
		.amdhsa_exception_fp_ieee_inexact 0
		.amdhsa_exception_int_div_zero 0
	.end_amdhsa_kernel
	.section	.text._ZL19rocblas_copy_kernelIiLi256EP19rocblas_complex_numIfES2_EviT1_lT_lT2_lS4_li,"axG",@progbits,_ZL19rocblas_copy_kernelIiLi256EP19rocblas_complex_numIfES2_EviT1_lT_lT2_lS4_li,comdat
.Lfunc_end8:
	.size	_ZL19rocblas_copy_kernelIiLi256EP19rocblas_complex_numIfES2_EviT1_lT_lT2_lS4_li, .Lfunc_end8-_ZL19rocblas_copy_kernelIiLi256EP19rocblas_complex_numIfES2_EviT1_lT_lT2_lS4_li
                                        ; -- End function
	.set _ZL19rocblas_copy_kernelIiLi256EP19rocblas_complex_numIfES2_EviT1_lT_lT2_lS4_li.num_vgpr, 8
	.set _ZL19rocblas_copy_kernelIiLi256EP19rocblas_complex_numIfES2_EviT1_lT_lT2_lS4_li.num_agpr, 0
	.set _ZL19rocblas_copy_kernelIiLi256EP19rocblas_complex_numIfES2_EviT1_lT_lT2_lS4_li.numbered_sgpr, 20
	.set _ZL19rocblas_copy_kernelIiLi256EP19rocblas_complex_numIfES2_EviT1_lT_lT2_lS4_li.num_named_barrier, 0
	.set _ZL19rocblas_copy_kernelIiLi256EP19rocblas_complex_numIfES2_EviT1_lT_lT2_lS4_li.private_seg_size, 0
	.set _ZL19rocblas_copy_kernelIiLi256EP19rocblas_complex_numIfES2_EviT1_lT_lT2_lS4_li.uses_vcc, 1
	.set _ZL19rocblas_copy_kernelIiLi256EP19rocblas_complex_numIfES2_EviT1_lT_lT2_lS4_li.uses_flat_scratch, 0
	.set _ZL19rocblas_copy_kernelIiLi256EP19rocblas_complex_numIfES2_EviT1_lT_lT2_lS4_li.has_dyn_sized_stack, 0
	.set _ZL19rocblas_copy_kernelIiLi256EP19rocblas_complex_numIfES2_EviT1_lT_lT2_lS4_li.has_recursion, 0
	.set _ZL19rocblas_copy_kernelIiLi256EP19rocblas_complex_numIfES2_EviT1_lT_lT2_lS4_li.has_indirect_call, 0
	.section	.AMDGPU.csdata,"",@progbits
; Kernel info:
; codeLenInByte = 268
; TotalNumSgprs: 26
; NumVgprs: 8
; NumAgprs: 0
; TotalNumVgprs: 8
; ScratchSize: 0
; MemoryBound: 0
; FloatMode: 240
; IeeeMode: 1
; LDSByteSize: 0 bytes/workgroup (compile time only)
; SGPRBlocks: 3
; VGPRBlocks: 0
; NumSGPRsForWavesPerEU: 26
; NumVGPRsForWavesPerEU: 8
; AccumOffset: 8
; Occupancy: 8
; WaveLimiterHint : 0
; COMPUTE_PGM_RSRC2:SCRATCH_EN: 0
; COMPUTE_PGM_RSRC2:USER_SGPR: 2
; COMPUTE_PGM_RSRC2:TRAP_HANDLER: 0
; COMPUTE_PGM_RSRC2:TGID_X_EN: 1
; COMPUTE_PGM_RSRC2:TGID_Y_EN: 0
; COMPUTE_PGM_RSRC2:TGID_Z_EN: 1
; COMPUTE_PGM_RSRC2:TIDIG_COMP_CNT: 0
; COMPUTE_PGM_RSRC3_GFX90A:ACCUM_OFFSET: 1
; COMPUTE_PGM_RSRC3_GFX90A:TG_SPLIT: 0
	.section	.text._ZL20rocblas_tbmvx_kernelILi64ELi16EPK19rocblas_complex_numIfEPS1_Ev18rocblas_operation_bbiiT1_lllS6_T2_llli,"axG",@progbits,_ZL20rocblas_tbmvx_kernelILi64ELi16EPK19rocblas_complex_numIfEPS1_Ev18rocblas_operation_bbiiT1_lllS6_T2_llli,comdat
	.globl	_ZL20rocblas_tbmvx_kernelILi64ELi16EPK19rocblas_complex_numIfEPS1_Ev18rocblas_operation_bbiiT1_lllS6_T2_llli ; -- Begin function _ZL20rocblas_tbmvx_kernelILi64ELi16EPK19rocblas_complex_numIfEPS1_Ev18rocblas_operation_bbiiT1_lllS6_T2_llli
	.p2align	8
	.type	_ZL20rocblas_tbmvx_kernelILi64ELi16EPK19rocblas_complex_numIfEPS1_Ev18rocblas_operation_bbiiT1_lllS6_T2_llli,@function
_ZL20rocblas_tbmvx_kernelILi64ELi16EPK19rocblas_complex_numIfEPS1_Ev18rocblas_operation_bbiiT1_lllS6_T2_llli: ; @_ZL20rocblas_tbmvx_kernelILi64ELi16EPK19rocblas_complex_numIfEPS1_Ev18rocblas_operation_bbiiT1_lllS6_T2_llli
; %bb.0:
	s_load_dwordx2 s[4:5], s[0:1], 0x6c
	s_waitcnt lgkmcnt(0)
	s_lshr_b32 s6, s4, 16
	s_and_b32 s33, s4, 0xffff
	s_and_b32 s5, s5, 0xffff
	s_mul_i32 s4, s6, s33
	s_mul_i32 s4, s4, s5
	s_cmpk_lg_i32 s4, 0x400
	s_cbranch_scc1 .LBB9_76
; %bb.1:
	s_load_dwordx2 s[6:7], s[0:1], 0x0
	s_load_dwordx4 s[24:27], s[0:1], 0x4
	s_load_dwordx16 s[8:23], s[0:1], 0x10
	v_and_b32_e32 v1, 0x3ff, v0
	v_bfe_u32 v0, v0, 10, 10
	s_waitcnt lgkmcnt(0)
	s_bitcmp1_b32 s7, 0
	s_cselect_b64 s[28:29], -1, 0
	s_bitcmp1_b32 s24, 8
	s_mul_i32 s7, s15, s3
	s_mul_hi_u32 s15, s14, s3
	s_cselect_b64 s[30:31], -1, 0
	s_add_i32 s15, s15, s7
	s_ashr_i32 s7, s25, 31
	s_mul_hi_u32 s24, s25, s3
	s_mul_i32 s7, s7, s3
	v_mad_u32_u24 v13, v0, s33, v1
	s_add_i32 s35, s24, s7
	v_and_b32_e32 v17, 63, v13
	s_lshl_b32 s2, s2, 6
	s_mov_b64 s[4:5], -1
	s_mul_i32 s14, s14, s3
	s_mul_i32 s34, s25, s3
	v_lshrrev_b32_e32 v0, 6, v13
	s_cmpk_lg_i32 s6, 0x6f
	v_or_b32_e32 v4, s2, v17
                                        ; implicit-def: $vgpr2_vgpr3
	s_cbranch_scc0 .LBB9_48
; %bb.2:
	v_mov_b32_e32 v7, 0
	v_mov_b32_e32 v1, v7
	v_cmp_gt_i64_e32 vcc, s[12:13], v[0:1]
	v_cmp_ge_i32_e64 s[4:5], s26, v0
	v_mov_b32_e32 v6, v7
	s_and_b64 s[4:5], s[4:5], vcc
	v_mov_b64_e32 v[2:3], v[6:7]
	s_and_saveexec_b64 s[36:37], s[4:5]
	s_cbranch_execz .LBB9_47
; %bb.3:
	s_xor_b64 s[38:39], s[28:29], -1
	s_xor_b64 s[40:41], s[30:31], -1
	s_cmpk_lg_i32 s6, 0x71
	s_cselect_b64 s[42:43], -1, 0
	s_lshl_b64 s[6:7], s[14:15], 3
	s_add_u32 s4, s8, s6
	s_addc_u32 s5, s9, s7
	s_lshl_b64 s[46:47], s[10:11], 3
	s_add_u32 s48, s4, s46
	v_ashrrev_i32_e32 v5, 31, v4
	s_addc_u32 s49, s5, s47
	s_lshl_b64 s[4:5], s[34:35], 3
	v_mul_lo_u32 v6, s13, v4
	v_mul_lo_u32 v8, s12, v5
	v_mad_u64_u32 v[2:3], s[50:51], s12, v4, 0
	s_add_u32 s44, s16, s4
	v_add3_u32 v3, v3, v8, v6
	v_add_u32_e32 v12, s2, v17
	s_addc_u32 s45, s17, s5
	v_lshl_add_u64 v[8:9], v[2:3], 3, s[48:49]
	v_ashrrev_i32_e32 v2, 31, v12
	v_mul_lo_u32 v6, s12, v2
	v_mul_lo_u32 v14, s13, v12
	v_mad_u64_u32 v[2:3], s[48:49], s12, v12, 0
	s_add_u32 s6, s46, s6
	v_add3_u32 v3, v3, v6, v14
	s_addc_u32 s7, s47, s7
	v_lshl_add_u64 v[2:3], v[2:3], 3, s[6:7]
	v_lshlrev_b32_e32 v6, 3, v0
	v_lshl_add_u64 v[2:3], v[2:3], 0, v[6:7]
	v_lshl_add_u64 v[2:3], s[8:9], 0, v[2:3]
	v_mov_b32_e32 v6, v7
	v_cmp_gt_i32_e64 s[4:5], s25, v4
	v_xad_u32 v22, v4, -1, s25
	v_lshl_add_u64 v[10:11], v[4:5], 3, s[44:45]
	v_sub_u32_e32 v5, s26, v4
	v_lshl_add_u64 v[14:15], v[2:3], 0, 4
	v_subrev_u32_e32 v16, s26, v12
	s_mov_b64 s[46:47], 0
	s_mov_b64 s[48:49], 0x80
	v_mov_b64_e32 v[18:19], v[0:1]
	v_mov_b64_e32 v[2:3], v[6:7]
	s_branch .LBB9_9
.LBB9_4:                                ;   in Loop: Header=BB9_9 Depth=1
	v_mov_b64_e32 v[2:3], v[20:21]
.LBB9_5:                                ;   in Loop: Header=BB9_9 Depth=1
	s_or_b64 exec, exec, s[52:53]
.LBB9_6:                                ;   in Loop: Header=BB9_9 Depth=1
	s_or_b64 exec, exec, s[6:7]
	v_mov_b64_e32 v[20:21], v[2:3]
.LBB9_7:                                ;   in Loop: Header=BB9_9 Depth=1
	v_mov_b64_e32 v[2:3], v[20:21]
.LBB9_8:                                ;   in Loop: Header=BB9_9 Depth=1
	s_or_b64 exec, exec, s[50:51]
	v_lshl_add_u64 v[18:19], v[18:19], 0, 16
	v_mov_b32_e32 v6, v18
	v_cmp_le_u64_e32 vcc, s[12:13], v[6:7]
	v_cmp_lt_i32_e64 s[6:7], s26, v18
	s_or_b64 s[6:7], s[6:7], vcc
	s_and_b64 s[6:7], exec, s[6:7]
	s_or_b64 s[46:47], s[6:7], s[46:47]
	v_lshl_add_u64 v[14:15], v[14:15], 0, s[48:49]
	s_andn2_b64 exec, exec, s[46:47]
	s_cbranch_execz .LBB9_46
.LBB9_9:                                ; =>This Inner Loop Header: Depth=1
	s_and_saveexec_b64 s[50:51], s[4:5]
	s_cbranch_execz .LBB9_8
; %bb.10:                               ;   in Loop: Header=BB9_9 Depth=1
	s_mov_b64 s[6:7], -1
	s_and_b64 vcc, exec, s[38:39]
                                        ; implicit-def: $vgpr20_vgpr21
	s_cbranch_vccz .LBB9_29
; %bb.11:                               ;   in Loop: Header=BB9_9 Depth=1
	v_cmp_lt_i32_e32 vcc, v22, v18
	v_cmp_eq_u64_e64 s[6:7], 0, v[18:19]
	s_or_b64 s[6:7], s[6:7], vcc
                                        ; implicit-def: $vgpr20_vgpr21
	s_and_saveexec_b64 s[52:53], s[6:7]
	s_xor_b64 s[6:7], exec, s[52:53]
	s_cbranch_execz .LBB9_22
; %bb.12:                               ;   in Loop: Header=BB9_9 Depth=1
	v_cmp_eq_u64_e32 vcc, 0, v[18:19]
	v_mov_b64_e32 v[20:21], v[2:3]
	s_and_saveexec_b64 s[52:53], vcc
	s_cbranch_execz .LBB9_21
; %bb.13:                               ;   in Loop: Header=BB9_9 Depth=1
	s_mov_b64 s[54:55], -1
	s_and_b64 vcc, exec, s[40:41]
                                        ; implicit-def: $vgpr20_vgpr21
	s_cbranch_vccz .LBB9_19
; %bb.14:                               ;   in Loop: Header=BB9_9 Depth=1
	s_and_b64 vcc, exec, s[42:43]
                                        ; implicit-def: $vgpr20
                                        ; implicit-def: $vgpr6
	s_cbranch_vccz .LBB9_16
; %bb.15:                               ;   in Loop: Header=BB9_9 Depth=1
	global_load_dwordx2 v[20:21], v[8:9], off
	s_mov_b64 s[54:55], 0
	s_waitcnt vmcnt(0)
	v_mov_b32_e32 v6, v21
.LBB9_16:                               ;   in Loop: Header=BB9_9 Depth=1
	s_andn2_b64 vcc, exec, s[54:55]
	s_cbranch_vccnz .LBB9_18
; %bb.17:                               ;   in Loop: Header=BB9_9 Depth=1
	global_load_dwordx2 v[20:21], v[8:9], off
	s_waitcnt vmcnt(0)
	v_xor_b32_e32 v6, 0x80000000, v21
.LBB9_18:                               ;   in Loop: Header=BB9_9 Depth=1
	global_load_dwordx2 v[24:25], v[10:11], off
	s_mov_b64 s[54:55], 0
	s_waitcnt vmcnt(0)
	v_pk_mul_f32 v[26:27], v[6:7], v[24:25] op_sel:[0,1] op_sel_hi:[0,0]
	v_pk_fma_f32 v[28:29], v[24:25], v[20:21], v[26:27] neg_lo:[0,0,1] neg_hi:[0,0,1]
	v_pk_fma_f32 v[20:21], v[24:25], v[20:21], v[26:27] op_sel_hi:[1,0,1]
	s_nop 0
	v_mov_b32_e32 v29, v21
	v_pk_add_f32 v[20:21], v[2:3], v[28:29]
.LBB9_19:                               ;   in Loop: Header=BB9_9 Depth=1
	s_and_b64 vcc, exec, s[54:55]
	s_cbranch_vccz .LBB9_21
; %bb.20:                               ;   in Loop: Header=BB9_9 Depth=1
	global_load_dwordx2 v[20:21], v[10:11], off
	s_waitcnt vmcnt(0)
	v_pk_add_f32 v[20:21], v[2:3], v[20:21]
.LBB9_21:                               ;   in Loop: Header=BB9_9 Depth=1
	s_or_b64 exec, exec, s[52:53]
.LBB9_22:                               ;   in Loop: Header=BB9_9 Depth=1
	s_andn2_saveexec_b64 s[6:7], s[6:7]
	s_cbranch_execz .LBB9_28
; %bb.23:                               ;   in Loop: Header=BB9_9 Depth=1
	s_mov_b64 s[52:53], -1
	s_and_b64 vcc, exec, s[42:43]
                                        ; implicit-def: $vgpr20
                                        ; implicit-def: $vgpr6
	s_cbranch_vccz .LBB9_25
; %bb.24:                               ;   in Loop: Header=BB9_9 Depth=1
	global_load_dwordx2 v[20:21], v[14:15], off offset:-4
	s_mov_b64 s[52:53], 0
	s_waitcnt vmcnt(0)
	v_mov_b32_e32 v6, v21
.LBB9_25:                               ;   in Loop: Header=BB9_9 Depth=1
	s_andn2_b64 vcc, exec, s[52:53]
	s_cbranch_vccnz .LBB9_27
; %bb.26:                               ;   in Loop: Header=BB9_9 Depth=1
	global_load_dwordx2 v[20:21], v[14:15], off offset:-4
	s_waitcnt vmcnt(0)
	v_xor_b32_e32 v6, 0x80000000, v21
.LBB9_27:                               ;   in Loop: Header=BB9_9 Depth=1
	v_add_u32_e32 v24, v12, v18
	v_ashrrev_i32_e32 v25, 31, v24
	v_lshl_add_u64 v[24:25], v[24:25], 3, s[44:45]
	global_load_dwordx2 v[24:25], v[24:25], off
	s_waitcnt vmcnt(0)
	v_pk_mul_f32 v[26:27], v[6:7], v[24:25] op_sel:[0,1] op_sel_hi:[0,0]
	v_pk_fma_f32 v[28:29], v[24:25], v[20:21], v[26:27] neg_lo:[0,0,1] neg_hi:[0,0,1]
	v_pk_fma_f32 v[20:21], v[24:25], v[20:21], v[26:27] op_sel_hi:[1,0,1]
	s_nop 0
	v_mov_b32_e32 v29, v21
	v_pk_add_f32 v[20:21], v[2:3], v[28:29]
.LBB9_28:                               ;   in Loop: Header=BB9_9 Depth=1
	s_or_b64 exec, exec, s[6:7]
	s_mov_b64 s[6:7], 0
.LBB9_29:                               ;   in Loop: Header=BB9_9 Depth=1
	s_andn2_b64 vcc, exec, s[6:7]
	s_cbranch_vccnz .LBB9_7
; %bb.30:                               ;   in Loop: Header=BB9_9 Depth=1
	v_cmp_gt_i32_e32 vcc, s26, v18
	v_cmp_le_i32_e64 s[6:7], v5, v18
	s_and_b64 s[6:7], vcc, s[6:7]
	s_and_saveexec_b64 s[52:53], s[6:7]
	s_xor_b64 s[6:7], exec, s[52:53]
	s_cbranch_execz .LBB9_36
; %bb.31:                               ;   in Loop: Header=BB9_9 Depth=1
	s_mov_b64 s[52:53], -1
	s_and_b64 vcc, exec, s[42:43]
                                        ; implicit-def: $vgpr6
                                        ; implicit-def: $vgpr20
	s_cbranch_vccz .LBB9_33
; %bb.32:                               ;   in Loop: Header=BB9_9 Depth=1
	global_load_dwordx2 v[20:21], v[14:15], off offset:-4
	s_mov_b64 s[52:53], 0
	s_waitcnt vmcnt(0)
	v_mov_b32_e32 v6, v21
.LBB9_33:                               ;   in Loop: Header=BB9_9 Depth=1
	s_andn2_b64 vcc, exec, s[52:53]
	s_cbranch_vccnz .LBB9_35
; %bb.34:                               ;   in Loop: Header=BB9_9 Depth=1
	global_load_dwordx2 v[20:21], v[14:15], off offset:-4
	s_waitcnt vmcnt(0)
	v_xor_b32_e32 v6, 0x80000000, v21
.LBB9_35:                               ;   in Loop: Header=BB9_9 Depth=1
	v_add_u32_e32 v24, v16, v18
	v_ashrrev_i32_e32 v25, 31, v24
	v_lshl_add_u64 v[24:25], v[24:25], 3, s[44:45]
	global_load_dwordx2 v[24:25], v[24:25], off
	s_waitcnt vmcnt(0)
	v_pk_mul_f32 v[26:27], v[6:7], v[24:25] op_sel:[0,1] op_sel_hi:[0,0]
	v_pk_fma_f32 v[28:29], v[24:25], v[20:21], v[26:27] neg_lo:[0,0,1] neg_hi:[0,0,1]
	v_pk_fma_f32 v[20:21], v[24:25], v[20:21], v[26:27] op_sel_hi:[1,0,1]
	s_nop 0
	v_mov_b32_e32 v29, v21
	v_pk_add_f32 v[2:3], v[2:3], v[28:29]
.LBB9_36:                               ;   in Loop: Header=BB9_9 Depth=1
	s_andn2_saveexec_b64 s[6:7], s[6:7]
	s_cbranch_execz .LBB9_6
; %bb.37:                               ;   in Loop: Header=BB9_9 Depth=1
	v_cmp_eq_u32_e32 vcc, s26, v18
	s_and_saveexec_b64 s[52:53], vcc
	s_cbranch_execz .LBB9_5
; %bb.38:                               ;   in Loop: Header=BB9_9 Depth=1
	s_mov_b64 s[54:55], -1
	s_and_b64 vcc, exec, s[40:41]
                                        ; implicit-def: $vgpr20_vgpr21
	s_cbranch_vccz .LBB9_44
; %bb.39:                               ;   in Loop: Header=BB9_9 Depth=1
	s_and_b64 vcc, exec, s[42:43]
                                        ; implicit-def: $vgpr20
                                        ; implicit-def: $vgpr6
	s_cbranch_vccz .LBB9_41
; %bb.40:                               ;   in Loop: Header=BB9_9 Depth=1
	global_load_dwordx2 v[20:21], v[14:15], off offset:-4
	s_mov_b64 s[54:55], 0
	s_waitcnt vmcnt(0)
	v_mov_b32_e32 v6, v21
.LBB9_41:                               ;   in Loop: Header=BB9_9 Depth=1
	s_andn2_b64 vcc, exec, s[54:55]
	s_cbranch_vccnz .LBB9_43
; %bb.42:                               ;   in Loop: Header=BB9_9 Depth=1
	global_load_dwordx2 v[20:21], v[14:15], off offset:-4
	s_waitcnt vmcnt(0)
	v_xor_b32_e32 v6, 0x80000000, v21
.LBB9_43:                               ;   in Loop: Header=BB9_9 Depth=1
	global_load_dwordx2 v[24:25], v[10:11], off
	s_mov_b64 s[54:55], 0
	s_waitcnt vmcnt(0)
	v_pk_mul_f32 v[26:27], v[6:7], v[24:25] op_sel:[0,1] op_sel_hi:[0,0]
	v_pk_fma_f32 v[28:29], v[24:25], v[20:21], v[26:27] neg_lo:[0,0,1] neg_hi:[0,0,1]
	v_pk_fma_f32 v[20:21], v[24:25], v[20:21], v[26:27] op_sel_hi:[1,0,1]
	s_nop 0
	v_mov_b32_e32 v29, v21
	v_pk_add_f32 v[20:21], v[2:3], v[28:29]
.LBB9_44:                               ;   in Loop: Header=BB9_9 Depth=1
	s_and_b64 vcc, exec, s[54:55]
	s_cbranch_vccz .LBB9_4
; %bb.45:                               ;   in Loop: Header=BB9_9 Depth=1
	global_load_dwordx2 v[20:21], v[10:11], off
	s_waitcnt vmcnt(0)
	v_pk_add_f32 v[20:21], v[2:3], v[20:21]
	s_branch .LBB9_4
.LBB9_46:
	s_or_b64 exec, exec, s[46:47]
.LBB9_47:
	s_or_b64 exec, exec, s[36:37]
	s_mov_b64 s[4:5], 0
.LBB9_48:
	s_andn2_b64 vcc, exec, s[4:5]
	s_cbranch_vccnz .LBB9_74
; %bb.49:
	v_mov_b32_e32 v7, 0
	v_mov_b32_e32 v6, v7
	v_cmp_gt_i32_e32 vcc, s25, v0
	v_mov_b64_e32 v[2:3], v[6:7]
	s_and_saveexec_b64 s[36:37], vcc
	s_cbranch_execz .LBB9_73
; %bb.50:
	s_and_b64 s[4:5], s[28:29], exec
	s_cselect_b32 s24, s26, 0
	s_and_b64 s[4:5], s[28:29], s[30:31]
	s_xor_b64 s[38:39], s[4:5], -1
	s_xor_b64 s[4:5], s[30:31], -1
	s_cmp_lg_u32 s26, 0
	s_cselect_b64 s[30:31], -1, 0
	s_and_b64 s[28:29], s[28:29], s[30:31]
	s_nor_b64 s[4:5], s[28:29], s[4:5]
	s_ashr_i32 s27, s26, 31
	s_lshl_b64 s[28:29], s[34:35], 3
	s_add_u32 s16, s16, s28
	s_addc_u32 s17, s17, s29
	s_lshl_b64 s[14:15], s[14:15], 3
	s_lshl_b64 s[10:11], s[10:11], 3
	s_add_u32 s8, s8, s10
	v_lshlrev_b32_e32 v6, 3, v0
	s_addc_u32 s9, s9, s11
	v_cmp_gt_i32_e64 s[6:7], s25, v4
	v_lshl_add_u64 v[4:5], s[16:17], 0, v[6:7]
	v_mad_u64_u32 v[2:3], s[16:17], s12, v0, 0
	s_add_u32 s8, s8, s14
	v_mov_b32_e32 v6, v3
	s_addc_u32 s9, s9, s15
	s_add_i32 s24, s24, s2
	v_mad_u64_u32 v[8:9], s[16:17], s13, v0, v[6:7]
	v_add_u32_e32 v1, s24, v17
	v_mov_b32_e32 v3, v8
	v_sub_u32_e32 v6, v1, v0
	v_cndmask_b32_e64 v1, 0, 1, s[4:5]
	v_lshl_add_u64 v[8:9], v[2:3], 3, s[8:9]
	s_lshl_b64 s[10:11], s[12:13], 7
	s_lshl_b64 s[12:13], s[26:27], 3
	v_mov_b32_e32 v2, v7
	v_mov_b32_e32 v3, v7
	s_mov_b64 s[14:15], 0
	v_cmp_ne_u32_e64 s[4:5], 1, v1
	s_mov_b64 s[16:17], 0x80
	s_branch .LBB9_53
.LBB9_51:                               ;   in Loop: Header=BB9_53 Depth=1
	s_or_b64 exec, exec, s[8:9]
.LBB9_52:                               ;   in Loop: Header=BB9_53 Depth=1
	s_or_b64 exec, exec, s[28:29]
	v_add_u32_e32 v0, 16, v0
	v_cmp_le_i32_e32 vcc, s25, v0
	v_lshl_add_u64 v[4:5], v[4:5], 0, s[16:17]
	v_lshl_add_u64 v[8:9], v[8:9], 0, s[10:11]
	s_or_b64 s[14:15], vcc, s[14:15]
	v_add_u32_e32 v6, -16, v6
	s_andn2_b64 exec, exec, s[14:15]
	s_cbranch_execz .LBB9_72
.LBB9_53:                               ; =>This Inner Loop Header: Depth=1
	s_and_saveexec_b64 s[28:29], s[6:7]
	s_cbranch_execz .LBB9_52
; %bb.54:                               ;   in Loop: Header=BB9_53 Depth=1
	v_cmp_le_i32_e32 vcc, s26, v6
	v_cmp_gt_i32_e64 s[8:9], 1, v6
	s_or_b64 s[8:9], vcc, s[8:9]
	s_and_saveexec_b64 s[30:31], s[8:9]
	s_xor_b64 s[8:9], exec, s[30:31]
	s_cbranch_execz .LBB9_70
; %bb.55:                               ;   in Loop: Header=BB9_53 Depth=1
	v_cmp_ne_u32_e32 vcc, 0, v6
	s_and_saveexec_b64 s[30:31], vcc
	s_xor_b64 s[30:31], exec, s[30:31]
	s_cbranch_execz .LBB9_63
; %bb.56:                               ;   in Loop: Header=BB9_53 Depth=1
	v_cmp_eq_u32_e32 vcc, s26, v6
	s_and_saveexec_b64 s[34:35], vcc
	s_cbranch_execz .LBB9_62
; %bb.57:                               ;   in Loop: Header=BB9_53 Depth=1
	s_mov_b64 s[40:41], -1
	s_and_b64 vcc, exec, s[38:39]
                                        ; implicit-def: $vgpr10_vgpr11
	s_cbranch_vccz .LBB9_59
; %bb.58:                               ;   in Loop: Header=BB9_53 Depth=1
	v_lshl_add_u64 v[10:11], v[8:9], 0, s[12:13]
	global_load_dwordx2 v[14:15], v[4:5], off
	global_load_dwordx2 v[16:17], v[10:11], off
	s_mov_b64 s[40:41], 0
	s_waitcnt vmcnt(0)
	v_pk_mul_f32 v[10:11], v[14:15], v[16:17] op_sel:[1,1] op_sel_hi:[0,1]
	v_pk_fma_f32 v[18:19], v[14:15], v[16:17], v[10:11] neg_lo:[0,0,1] neg_hi:[0,0,1]
	v_pk_fma_f32 v[10:11], v[14:15], v[16:17], v[10:11] op_sel_hi:[1,0,1]
	s_nop 0
	v_mov_b32_e32 v19, v11
	v_pk_add_f32 v[10:11], v[2:3], v[18:19]
.LBB9_59:                               ;   in Loop: Header=BB9_53 Depth=1
	s_andn2_b64 vcc, exec, s[40:41]
	s_cbranch_vccnz .LBB9_61
; %bb.60:                               ;   in Loop: Header=BB9_53 Depth=1
	global_load_dwordx2 v[10:11], v[4:5], off
	s_waitcnt vmcnt(0)
	v_pk_add_f32 v[10:11], v[2:3], v[10:11]
.LBB9_61:                               ;   in Loop: Header=BB9_53 Depth=1
	s_nop 0
	v_mov_b64_e32 v[2:3], v[10:11]
.LBB9_62:                               ;   in Loop: Header=BB9_53 Depth=1
	s_or_b64 exec, exec, s[34:35]
.LBB9_63:                               ;   in Loop: Header=BB9_53 Depth=1
	s_andn2_saveexec_b64 s[30:31], s[30:31]
	s_cbranch_execz .LBB9_69
; %bb.64:                               ;   in Loop: Header=BB9_53 Depth=1
	s_and_b64 vcc, exec, s[4:5]
	s_mov_b64 s[34:35], -1
                                        ; implicit-def: $vgpr10_vgpr11
	s_cbranch_vccnz .LBB9_66
; %bb.65:                               ;   in Loop: Header=BB9_53 Depth=1
	global_load_dwordx2 v[10:11], v[4:5], off
	s_mov_b64 s[34:35], 0
	s_waitcnt vmcnt(0)
	v_pk_add_f32 v[10:11], v[2:3], v[10:11]
.LBB9_66:                               ;   in Loop: Header=BB9_53 Depth=1
	s_andn2_b64 vcc, exec, s[34:35]
	s_cbranch_vccnz .LBB9_68
; %bb.67:                               ;   in Loop: Header=BB9_53 Depth=1
	global_load_dwordx2 v[10:11], v[8:9], off
	global_load_dwordx2 v[14:15], v[4:5], off
	s_waitcnt vmcnt(0)
	v_pk_mul_f32 v[16:17], v[14:15], v[10:11] op_sel:[1,1] op_sel_hi:[0,1]
	v_pk_fma_f32 v[18:19], v[14:15], v[10:11], v[16:17] neg_lo:[0,0,1] neg_hi:[0,0,1]
	v_pk_fma_f32 v[10:11], v[14:15], v[10:11], v[16:17] op_sel_hi:[1,0,1]
	s_nop 0
	v_mov_b32_e32 v19, v11
	v_pk_add_f32 v[10:11], v[2:3], v[18:19]
.LBB9_68:                               ;   in Loop: Header=BB9_53 Depth=1
	s_nop 0
	v_mov_b64_e32 v[2:3], v[10:11]
.LBB9_69:                               ;   in Loop: Header=BB9_53 Depth=1
	s_or_b64 exec, exec, s[30:31]
.LBB9_70:                               ;   in Loop: Header=BB9_53 Depth=1
	s_andn2_saveexec_b64 s[8:9], s[8:9]
	s_cbranch_execz .LBB9_51
; %bb.71:                               ;   in Loop: Header=BB9_53 Depth=1
	v_lshl_add_u64 v[10:11], v[6:7], 3, v[8:9]
	global_load_dwordx2 v[14:15], v[4:5], off
	global_load_dwordx2 v[16:17], v[10:11], off
	s_waitcnt vmcnt(0)
	v_pk_mul_f32 v[10:11], v[14:15], v[16:17] op_sel:[1,1] op_sel_hi:[0,1]
	v_pk_fma_f32 v[18:19], v[14:15], v[16:17], v[10:11] neg_lo:[0,0,1] neg_hi:[0,0,1]
	v_pk_fma_f32 v[10:11], v[14:15], v[16:17], v[10:11] op_sel_hi:[1,0,1]
	s_nop 0
	v_mov_b32_e32 v19, v11
	v_pk_add_f32 v[2:3], v[2:3], v[18:19]
	s_branch .LBB9_51
.LBB9_72:
	s_or_b64 exec, exec, s[14:15]
.LBB9_73:
	s_or_b64 exec, exec, s[36:37]
.LBB9_74:
	v_add_u32_e32 v1, s2, v13
	v_cmp_gt_u32_e32 vcc, 64, v13
	v_cmp_gt_i32_e64 s[4:5], s25, v1
	v_lshlrev_b32_e32 v0, 3, v13
	s_and_b64 s[4:5], vcc, s[4:5]
	ds_write_b64 v0, v[2:3]
	s_waitcnt lgkmcnt(0)
	s_barrier
	s_and_saveexec_b64 s[6:7], s[4:5]
	s_cbranch_execz .LBB9_76
; %bb.75:
	s_load_dwordx2 s[0:1], s[0:1], 0x50
	ds_read2st64_b64 v[2:5], v0 offset1:1
	ds_read2st64_b64 v[6:9], v0 offset0:2 offset1:3
	ds_read2st64_b64 v[10:13], v0 offset0:4 offset1:5
	s_waitcnt lgkmcnt(0)
	v_pk_add_f32 v[2:3], v[2:3], v[4:5]
	s_nop 0
	v_pk_add_f32 v[6:7], v[2:3], v[6:7]
	ds_read2st64_b64 v[2:5], v0 offset0:6 offset1:7
	v_pk_add_f32 v[6:7], v[6:7], v[8:9]
	s_mul_i32 s1, s1, s3
	v_pk_add_f32 v[10:11], v[6:7], v[10:11]
	ds_read2st64_b64 v[6:9], v0 offset0:8 offset1:9
	v_pk_add_f32 v[10:11], v[10:11], v[12:13]
	s_mul_hi_u32 s2, s0, s3
	s_waitcnt lgkmcnt(1)
	v_pk_add_f32 v[2:3], v[10:11], v[2:3]
	s_mul_i32 s0, s0, s3
	v_pk_add_f32 v[10:11], v[2:3], v[4:5]
	ds_read2st64_b64 v[2:5], v0 offset0:10 offset1:11
	s_waitcnt lgkmcnt(1)
	v_pk_add_f32 v[6:7], v[10:11], v[6:7]
	ds_read2st64_b64 v[10:13], v0 offset0:12 offset1:13
	v_pk_add_f32 v[14:15], v[6:7], v[8:9]
	ds_read2st64_b64 v[6:9], v0 offset0:14 offset1:15
	s_waitcnt lgkmcnt(2)
	v_pk_add_f32 v[2:3], v[14:15], v[2:3]
	s_add_i32 s1, s2, s1
	v_pk_add_f32 v[2:3], v[2:3], v[4:5]
	s_lshl_b64 s[0:1], s[0:1], 3
	s_waitcnt lgkmcnt(1)
	v_pk_add_f32 v[2:3], v[2:3], v[10:11]
	s_add_u32 s2, s18, s0
	v_pk_add_f32 v[2:3], v[2:3], v[12:13]
	s_addc_u32 s3, s19, s1
	s_waitcnt lgkmcnt(0)
	v_pk_add_f32 v[2:3], v[2:3], v[6:7]
	s_lshl_b64 s[0:1], s[20:21], 3
	v_pk_add_f32 v[2:3], v[2:3], v[8:9]
	s_add_u32 s0, s2, s0
	ds_write_b64 v0, v[2:3]
	v_ashrrev_i32_e32 v0, 31, v1
	s_addc_u32 s1, s3, s1
	v_mul_lo_u32 v4, s23, v1
	v_mul_lo_u32 v5, s22, v0
	v_mad_u64_u32 v[0:1], s[2:3], s22, v1, 0
	v_add3_u32 v1, v1, v5, v4
	v_lshl_add_u64 v[0:1], v[0:1], 3, s[0:1]
	global_store_dwordx2 v[0:1], v[2:3], off
.LBB9_76:
	s_endpgm
	.section	.rodata,"a",@progbits
	.p2align	6, 0x0
	.amdhsa_kernel _ZL20rocblas_tbmvx_kernelILi64ELi16EPK19rocblas_complex_numIfEPS1_Ev18rocblas_operation_bbiiT1_lllS6_T2_llli
		.amdhsa_group_segment_fixed_size 8192
		.amdhsa_private_segment_fixed_size 0
		.amdhsa_kernarg_size 352
		.amdhsa_user_sgpr_count 2
		.amdhsa_user_sgpr_dispatch_ptr 0
		.amdhsa_user_sgpr_queue_ptr 0
		.amdhsa_user_sgpr_kernarg_segment_ptr 1
		.amdhsa_user_sgpr_dispatch_id 0
		.amdhsa_user_sgpr_kernarg_preload_length 0
		.amdhsa_user_sgpr_kernarg_preload_offset 0
		.amdhsa_user_sgpr_private_segment_size 0
		.amdhsa_uses_dynamic_stack 0
		.amdhsa_enable_private_segment 0
		.amdhsa_system_sgpr_workgroup_id_x 1
		.amdhsa_system_sgpr_workgroup_id_y 0
		.amdhsa_system_sgpr_workgroup_id_z 1
		.amdhsa_system_sgpr_workgroup_info 0
		.amdhsa_system_vgpr_workitem_id 1
		.amdhsa_next_free_vgpr 30
		.amdhsa_next_free_sgpr 56
		.amdhsa_accum_offset 32
		.amdhsa_reserve_vcc 1
		.amdhsa_float_round_mode_32 0
		.amdhsa_float_round_mode_16_64 0
		.amdhsa_float_denorm_mode_32 3
		.amdhsa_float_denorm_mode_16_64 3
		.amdhsa_dx10_clamp 1
		.amdhsa_ieee_mode 1
		.amdhsa_fp16_overflow 0
		.amdhsa_tg_split 0
		.amdhsa_exception_fp_ieee_invalid_op 0
		.amdhsa_exception_fp_denorm_src 0
		.amdhsa_exception_fp_ieee_div_zero 0
		.amdhsa_exception_fp_ieee_overflow 0
		.amdhsa_exception_fp_ieee_underflow 0
		.amdhsa_exception_fp_ieee_inexact 0
		.amdhsa_exception_int_div_zero 0
	.end_amdhsa_kernel
	.section	.text._ZL20rocblas_tbmvx_kernelILi64ELi16EPK19rocblas_complex_numIfEPS1_Ev18rocblas_operation_bbiiT1_lllS6_T2_llli,"axG",@progbits,_ZL20rocblas_tbmvx_kernelILi64ELi16EPK19rocblas_complex_numIfEPS1_Ev18rocblas_operation_bbiiT1_lllS6_T2_llli,comdat
.Lfunc_end9:
	.size	_ZL20rocblas_tbmvx_kernelILi64ELi16EPK19rocblas_complex_numIfEPS1_Ev18rocblas_operation_bbiiT1_lllS6_T2_llli, .Lfunc_end9-_ZL20rocblas_tbmvx_kernelILi64ELi16EPK19rocblas_complex_numIfEPS1_Ev18rocblas_operation_bbiiT1_lllS6_T2_llli
                                        ; -- End function
	.set _ZL20rocblas_tbmvx_kernelILi64ELi16EPK19rocblas_complex_numIfEPS1_Ev18rocblas_operation_bbiiT1_lllS6_T2_llli.num_vgpr, 30
	.set _ZL20rocblas_tbmvx_kernelILi64ELi16EPK19rocblas_complex_numIfEPS1_Ev18rocblas_operation_bbiiT1_lllS6_T2_llli.num_agpr, 0
	.set _ZL20rocblas_tbmvx_kernelILi64ELi16EPK19rocblas_complex_numIfEPS1_Ev18rocblas_operation_bbiiT1_lllS6_T2_llli.numbered_sgpr, 56
	.set _ZL20rocblas_tbmvx_kernelILi64ELi16EPK19rocblas_complex_numIfEPS1_Ev18rocblas_operation_bbiiT1_lllS6_T2_llli.num_named_barrier, 0
	.set _ZL20rocblas_tbmvx_kernelILi64ELi16EPK19rocblas_complex_numIfEPS1_Ev18rocblas_operation_bbiiT1_lllS6_T2_llli.private_seg_size, 0
	.set _ZL20rocblas_tbmvx_kernelILi64ELi16EPK19rocblas_complex_numIfEPS1_Ev18rocblas_operation_bbiiT1_lllS6_T2_llli.uses_vcc, 1
	.set _ZL20rocblas_tbmvx_kernelILi64ELi16EPK19rocblas_complex_numIfEPS1_Ev18rocblas_operation_bbiiT1_lllS6_T2_llli.uses_flat_scratch, 0
	.set _ZL20rocblas_tbmvx_kernelILi64ELi16EPK19rocblas_complex_numIfEPS1_Ev18rocblas_operation_bbiiT1_lllS6_T2_llli.has_dyn_sized_stack, 0
	.set _ZL20rocblas_tbmvx_kernelILi64ELi16EPK19rocblas_complex_numIfEPS1_Ev18rocblas_operation_bbiiT1_lllS6_T2_llli.has_recursion, 0
	.set _ZL20rocblas_tbmvx_kernelILi64ELi16EPK19rocblas_complex_numIfEPS1_Ev18rocblas_operation_bbiiT1_lllS6_T2_llli.has_indirect_call, 0
	.section	.AMDGPU.csdata,"",@progbits
; Kernel info:
; codeLenInByte = 2292
; TotalNumSgprs: 62
; NumVgprs: 30
; NumAgprs: 0
; TotalNumVgprs: 30
; ScratchSize: 0
; MemoryBound: 1
; FloatMode: 240
; IeeeMode: 1
; LDSByteSize: 8192 bytes/workgroup (compile time only)
; SGPRBlocks: 7
; VGPRBlocks: 3
; NumSGPRsForWavesPerEU: 62
; NumVGPRsForWavesPerEU: 30
; AccumOffset: 32
; Occupancy: 8
; WaveLimiterHint : 0
; COMPUTE_PGM_RSRC2:SCRATCH_EN: 0
; COMPUTE_PGM_RSRC2:USER_SGPR: 2
; COMPUTE_PGM_RSRC2:TRAP_HANDLER: 0
; COMPUTE_PGM_RSRC2:TGID_X_EN: 1
; COMPUTE_PGM_RSRC2:TGID_Y_EN: 0
; COMPUTE_PGM_RSRC2:TGID_Z_EN: 1
; COMPUTE_PGM_RSRC2:TIDIG_COMP_CNT: 1
; COMPUTE_PGM_RSRC3_GFX90A:ACCUM_OFFSET: 7
; COMPUTE_PGM_RSRC3_GFX90A:TG_SPLIT: 0
	.section	.text._ZL19rocblas_copy_kernelIlLi256EP19rocblas_complex_numIdES2_EviT1_lT_lT2_lS4_li,"axG",@progbits,_ZL19rocblas_copy_kernelIlLi256EP19rocblas_complex_numIdES2_EviT1_lT_lT2_lS4_li,comdat
	.globl	_ZL19rocblas_copy_kernelIlLi256EP19rocblas_complex_numIdES2_EviT1_lT_lT2_lS4_li ; -- Begin function _ZL19rocblas_copy_kernelIlLi256EP19rocblas_complex_numIdES2_EviT1_lT_lT2_lS4_li
	.p2align	8
	.type	_ZL19rocblas_copy_kernelIlLi256EP19rocblas_complex_numIdES2_EviT1_lT_lT2_lS4_li,@function
_ZL19rocblas_copy_kernelIlLi256EP19rocblas_complex_numIdES2_EviT1_lT_lT2_lS4_li: ; @_ZL19rocblas_copy_kernelIlLi256EP19rocblas_complex_numIdES2_EviT1_lT_lT2_lS4_li
; %bb.0:
	s_load_dword s4, s[0:1], 0x0
	v_lshl_or_b32 v0, s2, 8, v0
	v_mov_b32_e32 v1, 0
	s_waitcnt lgkmcnt(0)
	s_ashr_i32 s5, s4, 31
	v_cmp_gt_i64_e32 vcc, s[4:5], v[0:1]
	s_and_saveexec_b64 s[4:5], vcc
	s_cbranch_execz .LBB10_2
; %bb.1:
	s_load_dwordx16 s[4:19], s[0:1], 0x8
	s_waitcnt lgkmcnt(0)
	s_mul_i32 s1, s19, s3
	s_mul_hi_u32 s2, s18, s3
	s_mul_i32 s0, s18, s3
	s_add_i32 s1, s2, s1
	s_lshl_b64 s[0:1], s[0:1], 4
	s_add_u32 s2, s12, s0
	s_addc_u32 s12, s13, s1
	s_lshl_b64 s[0:1], s[14:15], 4
	s_mul_i32 s11, s11, s3
	s_add_u32 s0, s2, s0
	s_mul_hi_u32 s2, s10, s3
	s_addc_u32 s1, s12, s1
	s_add_i32 s11, s2, s11
	s_mul_i32 s10, s10, s3
	s_lshl_b64 s[2:3], s[10:11], 4
	s_add_u32 s4, s4, s2
	s_addc_u32 s5, s5, s3
	s_lshl_b64 s[2:3], s[6:7], 4
	s_add_u32 s2, s4, s2
	s_addc_u32 s3, s5, s3
	v_mad_u64_u32 v[2:3], s[4:5], s8, v0, 0
	v_mov_b32_e32 v4, v3
	v_mad_u64_u32 v[4:5], s[4:5], s9, v0, v[4:5]
	v_mov_b32_e32 v3, v4
	v_lshl_add_u64 v[2:3], v[2:3], 4, s[2:3]
	global_load_dwordx4 v[2:5], v[2:3], off
	v_mad_u64_u32 v[6:7], s[2:3], s16, v0, 0
	v_mov_b32_e32 v8, v7
	v_mad_u64_u32 v[0:1], s[2:3], s17, v0, v[8:9]
	v_mov_b32_e32 v7, v0
	v_lshl_add_u64 v[0:1], v[6:7], 4, s[0:1]
	s_waitcnt vmcnt(0)
	global_store_dwordx4 v[0:1], v[2:5], off
.LBB10_2:
	s_endpgm
	.section	.rodata,"a",@progbits
	.p2align	6, 0x0
	.amdhsa_kernel _ZL19rocblas_copy_kernelIlLi256EP19rocblas_complex_numIdES2_EviT1_lT_lT2_lS4_li
		.amdhsa_group_segment_fixed_size 0
		.amdhsa_private_segment_fixed_size 0
		.amdhsa_kernarg_size 76
		.amdhsa_user_sgpr_count 2
		.amdhsa_user_sgpr_dispatch_ptr 0
		.amdhsa_user_sgpr_queue_ptr 0
		.amdhsa_user_sgpr_kernarg_segment_ptr 1
		.amdhsa_user_sgpr_dispatch_id 0
		.amdhsa_user_sgpr_kernarg_preload_length 0
		.amdhsa_user_sgpr_kernarg_preload_offset 0
		.amdhsa_user_sgpr_private_segment_size 0
		.amdhsa_uses_dynamic_stack 0
		.amdhsa_enable_private_segment 0
		.amdhsa_system_sgpr_workgroup_id_x 1
		.amdhsa_system_sgpr_workgroup_id_y 0
		.amdhsa_system_sgpr_workgroup_id_z 1
		.amdhsa_system_sgpr_workgroup_info 0
		.amdhsa_system_vgpr_workitem_id 0
		.amdhsa_next_free_vgpr 10
		.amdhsa_next_free_sgpr 20
		.amdhsa_accum_offset 12
		.amdhsa_reserve_vcc 1
		.amdhsa_float_round_mode_32 0
		.amdhsa_float_round_mode_16_64 0
		.amdhsa_float_denorm_mode_32 3
		.amdhsa_float_denorm_mode_16_64 3
		.amdhsa_dx10_clamp 1
		.amdhsa_ieee_mode 1
		.amdhsa_fp16_overflow 0
		.amdhsa_tg_split 0
		.amdhsa_exception_fp_ieee_invalid_op 0
		.amdhsa_exception_fp_denorm_src 0
		.amdhsa_exception_fp_ieee_div_zero 0
		.amdhsa_exception_fp_ieee_overflow 0
		.amdhsa_exception_fp_ieee_underflow 0
		.amdhsa_exception_fp_ieee_inexact 0
		.amdhsa_exception_int_div_zero 0
	.end_amdhsa_kernel
	.section	.text._ZL19rocblas_copy_kernelIlLi256EP19rocblas_complex_numIdES2_EviT1_lT_lT2_lS4_li,"axG",@progbits,_ZL19rocblas_copy_kernelIlLi256EP19rocblas_complex_numIdES2_EviT1_lT_lT2_lS4_li,comdat
.Lfunc_end10:
	.size	_ZL19rocblas_copy_kernelIlLi256EP19rocblas_complex_numIdES2_EviT1_lT_lT2_lS4_li, .Lfunc_end10-_ZL19rocblas_copy_kernelIlLi256EP19rocblas_complex_numIdES2_EviT1_lT_lT2_lS4_li
                                        ; -- End function
	.set _ZL19rocblas_copy_kernelIlLi256EP19rocblas_complex_numIdES2_EviT1_lT_lT2_lS4_li.num_vgpr, 10
	.set _ZL19rocblas_copy_kernelIlLi256EP19rocblas_complex_numIdES2_EviT1_lT_lT2_lS4_li.num_agpr, 0
	.set _ZL19rocblas_copy_kernelIlLi256EP19rocblas_complex_numIdES2_EviT1_lT_lT2_lS4_li.numbered_sgpr, 20
	.set _ZL19rocblas_copy_kernelIlLi256EP19rocblas_complex_numIdES2_EviT1_lT_lT2_lS4_li.num_named_barrier, 0
	.set _ZL19rocblas_copy_kernelIlLi256EP19rocblas_complex_numIdES2_EviT1_lT_lT2_lS4_li.private_seg_size, 0
	.set _ZL19rocblas_copy_kernelIlLi256EP19rocblas_complex_numIdES2_EviT1_lT_lT2_lS4_li.uses_vcc, 1
	.set _ZL19rocblas_copy_kernelIlLi256EP19rocblas_complex_numIdES2_EviT1_lT_lT2_lS4_li.uses_flat_scratch, 0
	.set _ZL19rocblas_copy_kernelIlLi256EP19rocblas_complex_numIdES2_EviT1_lT_lT2_lS4_li.has_dyn_sized_stack, 0
	.set _ZL19rocblas_copy_kernelIlLi256EP19rocblas_complex_numIdES2_EviT1_lT_lT2_lS4_li.has_recursion, 0
	.set _ZL19rocblas_copy_kernelIlLi256EP19rocblas_complex_numIdES2_EviT1_lT_lT2_lS4_li.has_indirect_call, 0
	.section	.AMDGPU.csdata,"",@progbits
; Kernel info:
; codeLenInByte = 220
; TotalNumSgprs: 26
; NumVgprs: 10
; NumAgprs: 0
; TotalNumVgprs: 10
; ScratchSize: 0
; MemoryBound: 0
; FloatMode: 240
; IeeeMode: 1
; LDSByteSize: 0 bytes/workgroup (compile time only)
; SGPRBlocks: 3
; VGPRBlocks: 1
; NumSGPRsForWavesPerEU: 26
; NumVGPRsForWavesPerEU: 10
; AccumOffset: 12
; Occupancy: 8
; WaveLimiterHint : 0
; COMPUTE_PGM_RSRC2:SCRATCH_EN: 0
; COMPUTE_PGM_RSRC2:USER_SGPR: 2
; COMPUTE_PGM_RSRC2:TRAP_HANDLER: 0
; COMPUTE_PGM_RSRC2:TGID_X_EN: 1
; COMPUTE_PGM_RSRC2:TGID_Y_EN: 0
; COMPUTE_PGM_RSRC2:TGID_Z_EN: 1
; COMPUTE_PGM_RSRC2:TIDIG_COMP_CNT: 0
; COMPUTE_PGM_RSRC3_GFX90A:ACCUM_OFFSET: 2
; COMPUTE_PGM_RSRC3_GFX90A:TG_SPLIT: 0
	.section	.text._ZL19rocblas_copy_kernelIiLi256EP19rocblas_complex_numIdES2_EviT1_lT_lT2_lS4_li,"axG",@progbits,_ZL19rocblas_copy_kernelIiLi256EP19rocblas_complex_numIdES2_EviT1_lT_lT2_lS4_li,comdat
	.globl	_ZL19rocblas_copy_kernelIiLi256EP19rocblas_complex_numIdES2_EviT1_lT_lT2_lS4_li ; -- Begin function _ZL19rocblas_copy_kernelIiLi256EP19rocblas_complex_numIdES2_EviT1_lT_lT2_lS4_li
	.p2align	8
	.type	_ZL19rocblas_copy_kernelIiLi256EP19rocblas_complex_numIdES2_EviT1_lT_lT2_lS4_li,@function
_ZL19rocblas_copy_kernelIiLi256EP19rocblas_complex_numIdES2_EviT1_lT_lT2_lS4_li: ; @_ZL19rocblas_copy_kernelIiLi256EP19rocblas_complex_numIdES2_EviT1_lT_lT2_lS4_li
; %bb.0:
	s_load_dword s4, s[0:1], 0x0
	v_lshl_or_b32 v0, s2, 8, v0
	v_mov_b32_e32 v1, 0
	s_waitcnt lgkmcnt(0)
	s_ashr_i32 s5, s4, 31
	v_cmp_gt_i64_e32 vcc, s[4:5], v[0:1]
	s_and_saveexec_b64 s[4:5], vcc
	s_cbranch_execz .LBB11_2
; %bb.1:
	s_load_dwordx4 s[4:7], s[0:1], 0x8
	s_load_dword s16, s[0:1], 0x18
	s_load_dword s17, s[0:1], 0x38
	s_load_dwordx2 s[12:13], s[0:1], 0x40
	s_load_dwordx4 s[8:11], s[0:1], 0x20
	s_load_dwordx2 s[14:15], s[0:1], 0x30
	s_waitcnt lgkmcnt(0)
	s_ashr_i32 s18, s16, 31
	s_ashr_i32 s19, s17, 31
	s_mul_i32 s0, s13, s3
	s_mul_hi_u32 s1, s12, s3
	s_add_i32 s1, s1, s0
	s_mul_i32 s0, s12, s3
	s_lshl_b64 s[0:1], s[0:1], 4
	s_add_u32 s2, s10, s0
	s_addc_u32 s10, s11, s1
	s_lshl_b64 s[0:1], s[14:15], 4
	s_add_u32 s0, s2, s0
	s_mul_i32 s2, s9, s3
	s_mul_hi_u32 s9, s8, s3
	s_addc_u32 s1, s10, s1
	s_add_i32 s9, s9, s2
	s_mul_i32 s8, s8, s3
	s_lshl_b64 s[2:3], s[8:9], 4
	s_add_u32 s4, s4, s2
	s_addc_u32 s5, s5, s3
	s_lshl_b64 s[2:3], s[6:7], 4
	s_add_u32 s2, s4, s2
	s_addc_u32 s3, s5, s3
	v_mad_u64_u32 v[2:3], s[4:5], s16, v0, 0
	v_mov_b32_e32 v4, v3
	v_mad_u64_u32 v[4:5], s[4:5], s18, v0, v[4:5]
	v_mov_b32_e32 v3, v4
	v_lshl_add_u64 v[2:3], v[2:3], 4, s[2:3]
	global_load_dwordx4 v[2:5], v[2:3], off
	v_mad_u64_u32 v[6:7], s[2:3], s17, v0, 0
	v_mov_b32_e32 v8, v7
	v_mad_u64_u32 v[0:1], s[2:3], s19, v0, v[8:9]
	v_mov_b32_e32 v7, v0
	v_lshl_add_u64 v[0:1], v[6:7], 4, s[0:1]
	s_waitcnt vmcnt(0)
	global_store_dwordx4 v[0:1], v[2:5], off
.LBB11_2:
	s_endpgm
	.section	.rodata,"a",@progbits
	.p2align	6, 0x0
	.amdhsa_kernel _ZL19rocblas_copy_kernelIiLi256EP19rocblas_complex_numIdES2_EviT1_lT_lT2_lS4_li
		.amdhsa_group_segment_fixed_size 0
		.amdhsa_private_segment_fixed_size 0
		.amdhsa_kernarg_size 76
		.amdhsa_user_sgpr_count 2
		.amdhsa_user_sgpr_dispatch_ptr 0
		.amdhsa_user_sgpr_queue_ptr 0
		.amdhsa_user_sgpr_kernarg_segment_ptr 1
		.amdhsa_user_sgpr_dispatch_id 0
		.amdhsa_user_sgpr_kernarg_preload_length 0
		.amdhsa_user_sgpr_kernarg_preload_offset 0
		.amdhsa_user_sgpr_private_segment_size 0
		.amdhsa_uses_dynamic_stack 0
		.amdhsa_enable_private_segment 0
		.amdhsa_system_sgpr_workgroup_id_x 1
		.amdhsa_system_sgpr_workgroup_id_y 0
		.amdhsa_system_sgpr_workgroup_id_z 1
		.amdhsa_system_sgpr_workgroup_info 0
		.amdhsa_system_vgpr_workitem_id 0
		.amdhsa_next_free_vgpr 10
		.amdhsa_next_free_sgpr 20
		.amdhsa_accum_offset 12
		.amdhsa_reserve_vcc 1
		.amdhsa_float_round_mode_32 0
		.amdhsa_float_round_mode_16_64 0
		.amdhsa_float_denorm_mode_32 3
		.amdhsa_float_denorm_mode_16_64 3
		.amdhsa_dx10_clamp 1
		.amdhsa_ieee_mode 1
		.amdhsa_fp16_overflow 0
		.amdhsa_tg_split 0
		.amdhsa_exception_fp_ieee_invalid_op 0
		.amdhsa_exception_fp_denorm_src 0
		.amdhsa_exception_fp_ieee_div_zero 0
		.amdhsa_exception_fp_ieee_overflow 0
		.amdhsa_exception_fp_ieee_underflow 0
		.amdhsa_exception_fp_ieee_inexact 0
		.amdhsa_exception_int_div_zero 0
	.end_amdhsa_kernel
	.section	.text._ZL19rocblas_copy_kernelIiLi256EP19rocblas_complex_numIdES2_EviT1_lT_lT2_lS4_li,"axG",@progbits,_ZL19rocblas_copy_kernelIiLi256EP19rocblas_complex_numIdES2_EviT1_lT_lT2_lS4_li,comdat
.Lfunc_end11:
	.size	_ZL19rocblas_copy_kernelIiLi256EP19rocblas_complex_numIdES2_EviT1_lT_lT2_lS4_li, .Lfunc_end11-_ZL19rocblas_copy_kernelIiLi256EP19rocblas_complex_numIdES2_EviT1_lT_lT2_lS4_li
                                        ; -- End function
	.set _ZL19rocblas_copy_kernelIiLi256EP19rocblas_complex_numIdES2_EviT1_lT_lT2_lS4_li.num_vgpr, 10
	.set _ZL19rocblas_copy_kernelIiLi256EP19rocblas_complex_numIdES2_EviT1_lT_lT2_lS4_li.num_agpr, 0
	.set _ZL19rocblas_copy_kernelIiLi256EP19rocblas_complex_numIdES2_EviT1_lT_lT2_lS4_li.numbered_sgpr, 20
	.set _ZL19rocblas_copy_kernelIiLi256EP19rocblas_complex_numIdES2_EviT1_lT_lT2_lS4_li.num_named_barrier, 0
	.set _ZL19rocblas_copy_kernelIiLi256EP19rocblas_complex_numIdES2_EviT1_lT_lT2_lS4_li.private_seg_size, 0
	.set _ZL19rocblas_copy_kernelIiLi256EP19rocblas_complex_numIdES2_EviT1_lT_lT2_lS4_li.uses_vcc, 1
	.set _ZL19rocblas_copy_kernelIiLi256EP19rocblas_complex_numIdES2_EviT1_lT_lT2_lS4_li.uses_flat_scratch, 0
	.set _ZL19rocblas_copy_kernelIiLi256EP19rocblas_complex_numIdES2_EviT1_lT_lT2_lS4_li.has_dyn_sized_stack, 0
	.set _ZL19rocblas_copy_kernelIiLi256EP19rocblas_complex_numIdES2_EviT1_lT_lT2_lS4_li.has_recursion, 0
	.set _ZL19rocblas_copy_kernelIiLi256EP19rocblas_complex_numIdES2_EviT1_lT_lT2_lS4_li.has_indirect_call, 0
	.section	.AMDGPU.csdata,"",@progbits
; Kernel info:
; codeLenInByte = 268
; TotalNumSgprs: 26
; NumVgprs: 10
; NumAgprs: 0
; TotalNumVgprs: 10
; ScratchSize: 0
; MemoryBound: 0
; FloatMode: 240
; IeeeMode: 1
; LDSByteSize: 0 bytes/workgroup (compile time only)
; SGPRBlocks: 3
; VGPRBlocks: 1
; NumSGPRsForWavesPerEU: 26
; NumVGPRsForWavesPerEU: 10
; AccumOffset: 12
; Occupancy: 8
; WaveLimiterHint : 0
; COMPUTE_PGM_RSRC2:SCRATCH_EN: 0
; COMPUTE_PGM_RSRC2:USER_SGPR: 2
; COMPUTE_PGM_RSRC2:TRAP_HANDLER: 0
; COMPUTE_PGM_RSRC2:TGID_X_EN: 1
; COMPUTE_PGM_RSRC2:TGID_Y_EN: 0
; COMPUTE_PGM_RSRC2:TGID_Z_EN: 1
; COMPUTE_PGM_RSRC2:TIDIG_COMP_CNT: 0
; COMPUTE_PGM_RSRC3_GFX90A:ACCUM_OFFSET: 2
; COMPUTE_PGM_RSRC3_GFX90A:TG_SPLIT: 0
	.section	.text._ZL20rocblas_tbmvx_kernelILi64ELi16EPK19rocblas_complex_numIdEPS1_Ev18rocblas_operation_bbiiT1_lllS6_T2_llli,"axG",@progbits,_ZL20rocblas_tbmvx_kernelILi64ELi16EPK19rocblas_complex_numIdEPS1_Ev18rocblas_operation_bbiiT1_lllS6_T2_llli,comdat
	.globl	_ZL20rocblas_tbmvx_kernelILi64ELi16EPK19rocblas_complex_numIdEPS1_Ev18rocblas_operation_bbiiT1_lllS6_T2_llli ; -- Begin function _ZL20rocblas_tbmvx_kernelILi64ELi16EPK19rocblas_complex_numIdEPS1_Ev18rocblas_operation_bbiiT1_lllS6_T2_llli
	.p2align	8
	.type	_ZL20rocblas_tbmvx_kernelILi64ELi16EPK19rocblas_complex_numIdEPS1_Ev18rocblas_operation_bbiiT1_lllS6_T2_llli,@function
_ZL20rocblas_tbmvx_kernelILi64ELi16EPK19rocblas_complex_numIdEPS1_Ev18rocblas_operation_bbiiT1_lllS6_T2_llli: ; @_ZL20rocblas_tbmvx_kernelILi64ELi16EPK19rocblas_complex_numIdEPS1_Ev18rocblas_operation_bbiiT1_lllS6_T2_llli
; %bb.0:
	s_load_dwordx2 s[4:5], s[0:1], 0x6c
	s_waitcnt lgkmcnt(0)
	s_lshr_b32 s6, s4, 16
	s_and_b32 s8, s4, 0xffff
	s_and_b32 s5, s5, 0xffff
	s_mul_i32 s4, s6, s8
	s_mul_i32 s4, s4, s5
	s_cmpk_lg_i32 s4, 0x400
	s_cbranch_scc1 .LBB12_60
; %bb.1:
	s_load_dwordx2 s[6:7], s[0:1], 0x0
	s_load_dwordx4 s[28:31], s[0:1], 0x4
	s_load_dwordx16 s[12:27], s[0:1], 0x10
	v_and_b32_e32 v1, 0x3ff, v0
	v_bfe_u32 v0, v0, 10, 10
	s_waitcnt lgkmcnt(0)
	s_bitcmp1_b32 s7, 0
	s_cselect_b64 s[34:35], -1, 0
	s_bitcmp1_b32 s28, 8
	s_mul_i32 s7, s19, s3
	s_mul_hi_u32 s9, s18, s3
	s_cselect_b64 s[36:37], -1, 0
	s_add_i32 s11, s9, s7
	s_ashr_i32 s7, s29, 31
	s_mul_hi_u32 s9, s29, s3
	s_mul_i32 s7, s7, s3
	v_mad_u32_u24 v19, v0, s8, v1
	s_add_i32 s19, s9, s7
	v_and_b32_e32 v15, 63, v19
	s_lshl_b32 s2, s2, 6
	s_mov_b64 s[4:5], -1
	s_mul_i32 s10, s18, s3
	s_mul_i32 s18, s29, s3
	v_lshrrev_b32_e32 v4, 6, v19
	s_cmpk_lg_i32 s6, 0x6f
	v_or_b32_e32 v6, s2, v15
                                        ; implicit-def: $vgpr0_vgpr1
	s_cbranch_scc0 .LBB12_32
; %bb.2:
	v_mov_b32_e32 v9, 0
	v_mov_b32_e32 v5, v9
	v_cmp_gt_i64_e32 vcc, s[16:17], v[4:5]
	v_cmp_ge_i32_e64 s[4:5], s30, v4
	s_and_b64 s[4:5], s[4:5], vcc
	v_mov_b64_e32 v[0:1], 0
	v_mov_b64_e32 v[2:3], 0
	s_and_saveexec_b64 s[38:39], s[4:5]
	s_cbranch_execz .LBB12_31
; %bb.3:
	s_xor_b64 s[40:41], s[34:35], -1
	s_xor_b64 s[42:43], s[36:37], -1
	s_cmpk_eq_i32 s6, 0x71
	s_cselect_b64 s[6:7], -1, 0
	s_lshl_b64 s[8:9], s[10:11], 4
	s_add_u32 s4, s12, s8
	s_addc_u32 s5, s13, s9
	s_lshl_b64 s[46:47], s[14:15], 4
	s_add_u32 s48, s4, s46
	v_ashrrev_i32_e32 v7, 31, v6
	s_addc_u32 s49, s5, s47
	s_lshl_b64 s[4:5], s[18:19], 4
	v_mul_lo_u32 v2, s17, v6
	v_mul_lo_u32 v3, s16, v7
	v_mad_u64_u32 v[0:1], s[50:51], s16, v6, 0
	s_add_u32 s44, s20, s4
	v_add3_u32 v1, v1, v3, v2
	v_add_u32_e32 v14, s2, v15
	s_addc_u32 s45, s21, s5
	v_lshl_add_u64 v[10:11], v[0:1], 4, s[48:49]
	v_ashrrev_i32_e32 v0, 31, v14
	v_mul_lo_u32 v2, s16, v0
	v_mul_lo_u32 v3, s17, v14
	v_mad_u64_u32 v[0:1], s[48:49], s16, v14, 0
	s_add_u32 s8, s46, s8
	v_add3_u32 v1, v1, v2, v3
	s_addc_u32 s9, s47, s9
	v_lshl_add_u64 v[0:1], v[0:1], 4, s[8:9]
	v_lshlrev_b32_e32 v8, 4, v4
	v_lshl_add_u64 v[0:1], v[0:1], 0, v[8:9]
	v_lshl_add_u64 v[0:1], s[12:13], 0, v[0:1]
	v_mov_b64_e32 v[2:3], 0
	v_cmp_gt_i32_e64 s[4:5], s29, v6
	v_xad_u32 v26, v6, -1, s29
	v_lshl_add_u64 v[12:13], v[6:7], 4, s[44:45]
	v_sub_u32_e32 v7, s30, v6
	v_lshl_add_u64 v[16:17], v[0:1], 0, 8
	v_subrev_u32_e32 v18, s30, v14
	s_mov_b64 s[46:47], 0
	s_mov_b64 s[48:49], 0x100
	v_mov_b64_e32 v[20:21], v[4:5]
	v_mov_b64_e32 v[0:1], v[2:3]
	s_branch .LBB12_9
.LBB12_4:                               ;   in Loop: Header=BB12_9 Depth=1
	v_mov_b64_e32 v[2:3], v[22:23]
	v_mov_b64_e32 v[0:1], v[24:25]
.LBB12_5:                               ;   in Loop: Header=BB12_9 Depth=1
	s_or_b64 exec, exec, s[52:53]
.LBB12_6:                               ;   in Loop: Header=BB12_9 Depth=1
	s_or_b64 exec, exec, s[8:9]
	v_mov_b64_e32 v[22:23], v[2:3]
	v_mov_b64_e32 v[24:25], v[0:1]
.LBB12_7:                               ;   in Loop: Header=BB12_9 Depth=1
	v_mov_b64_e32 v[0:1], v[24:25]
	v_mov_b64_e32 v[2:3], v[22:23]
.LBB12_8:                               ;   in Loop: Header=BB12_9 Depth=1
	s_or_b64 exec, exec, s[50:51]
	v_lshl_add_u64 v[20:21], v[20:21], 0, 16
	v_mov_b32_e32 v8, v20
	v_cmp_le_u64_e32 vcc, s[16:17], v[8:9]
	v_cmp_lt_i32_e64 s[8:9], s30, v20
	s_or_b64 s[8:9], s[8:9], vcc
	s_and_b64 s[8:9], exec, s[8:9]
	s_or_b64 s[46:47], s[8:9], s[46:47]
	v_lshl_add_u64 v[16:17], v[16:17], 0, s[48:49]
	s_andn2_b64 exec, exec, s[46:47]
	s_cbranch_execz .LBB12_30
.LBB12_9:                               ; =>This Inner Loop Header: Depth=1
	s_and_saveexec_b64 s[50:51], s[4:5]
	s_cbranch_execz .LBB12_8
; %bb.10:                               ;   in Loop: Header=BB12_9 Depth=1
	s_mov_b64 s[8:9], -1
	s_and_b64 vcc, exec, s[40:41]
                                        ; implicit-def: $vgpr22_vgpr23
                                        ; implicit-def: $vgpr24_vgpr25
	s_cbranch_vccz .LBB12_21
; %bb.11:                               ;   in Loop: Header=BB12_9 Depth=1
	v_cmp_lt_i32_e32 vcc, v26, v20
	v_cmp_eq_u64_e64 s[8:9], 0, v[20:21]
	s_or_b64 s[8:9], s[8:9], vcc
                                        ; implicit-def: $vgpr22_vgpr23
                                        ; implicit-def: $vgpr24_vgpr25
	s_and_saveexec_b64 s[52:53], s[8:9]
	s_xor_b64 s[8:9], exec, s[52:53]
	s_cbranch_execz .LBB12_18
; %bb.12:                               ;   in Loop: Header=BB12_9 Depth=1
	v_cmp_eq_u64_e32 vcc, 0, v[20:21]
	v_mov_b64_e32 v[22:23], v[2:3]
	v_mov_b64_e32 v[24:25], v[0:1]
	s_and_saveexec_b64 s[52:53], vcc
	s_cbranch_execz .LBB12_17
; %bb.13:                               ;   in Loop: Header=BB12_9 Depth=1
	s_mov_b64 s[54:55], -1
	s_and_b64 vcc, exec, s[42:43]
                                        ; implicit-def: $vgpr22_vgpr23
                                        ; implicit-def: $vgpr24_vgpr25
	s_cbranch_vccz .LBB12_15
; %bb.14:                               ;   in Loop: Header=BB12_9 Depth=1
	global_load_dwordx4 v[22:25], v[10:11], off
	global_load_dwordx4 v[28:31], v[12:13], off
	s_mov_b64 s[54:55], 0
	s_waitcnt vmcnt(1)
	v_xor_b32_e32 v5, 0x80000000, v25
	v_cndmask_b32_e64 v25, v25, v5, s[6:7]
	s_waitcnt vmcnt(0)
	v_mul_f64 v[32:33], v[22:23], v[30:31]
	v_mul_f64 v[30:31], v[24:25], v[30:31]
	v_fmac_f64_e32 v[32:33], v[24:25], v[28:29]
	v_fma_f64 v[24:25], v[22:23], v[28:29], -v[30:31]
	v_add_f64 v[22:23], v[2:3], v[32:33]
	v_add_f64 v[24:25], v[0:1], v[24:25]
.LBB12_15:                              ;   in Loop: Header=BB12_9 Depth=1
	s_andn2_b64 vcc, exec, s[54:55]
	s_cbranch_vccnz .LBB12_17
; %bb.16:                               ;   in Loop: Header=BB12_9 Depth=1
	global_load_dwordx4 v[28:31], v[12:13], off
	s_waitcnt vmcnt(0)
	v_add_f64 v[24:25], v[0:1], v[28:29]
	v_add_f64 v[22:23], v[2:3], v[30:31]
.LBB12_17:                              ;   in Loop: Header=BB12_9 Depth=1
	s_or_b64 exec, exec, s[52:53]
.LBB12_18:                              ;   in Loop: Header=BB12_9 Depth=1
	s_andn2_saveexec_b64 s[8:9], s[8:9]
	s_cbranch_execz .LBB12_20
; %bb.19:                               ;   in Loop: Header=BB12_9 Depth=1
	v_add_u32_e32 v28, v14, v20
	global_load_dwordx4 v[22:25], v[16:17], off offset:-8
	v_ashrrev_i32_e32 v29, 31, v28
	v_lshl_add_u64 v[28:29], v[28:29], 4, s[44:45]
	global_load_dwordx4 v[28:31], v[28:29], off
	s_waitcnt vmcnt(1)
	v_xor_b32_e32 v5, 0x80000000, v25
	v_cndmask_b32_e64 v25, v25, v5, s[6:7]
	s_waitcnt vmcnt(0)
	v_mul_f64 v[32:33], v[24:25], v[30:31]
	v_mul_f64 v[30:31], v[22:23], v[30:31]
	v_fma_f64 v[22:23], v[22:23], v[28:29], -v[32:33]
	v_fmac_f64_e32 v[30:31], v[24:25], v[28:29]
	v_add_f64 v[24:25], v[0:1], v[22:23]
	v_add_f64 v[22:23], v[2:3], v[30:31]
.LBB12_20:                              ;   in Loop: Header=BB12_9 Depth=1
	s_or_b64 exec, exec, s[8:9]
	s_mov_b64 s[8:9], 0
.LBB12_21:                              ;   in Loop: Header=BB12_9 Depth=1
	s_andn2_b64 vcc, exec, s[8:9]
	s_cbranch_vccnz .LBB12_7
; %bb.22:                               ;   in Loop: Header=BB12_9 Depth=1
	v_cmp_gt_i32_e32 vcc, s30, v20
	v_cmp_le_i32_e64 s[8:9], v7, v20
	s_and_b64 s[8:9], vcc, s[8:9]
	s_and_saveexec_b64 s[52:53], s[8:9]
	s_xor_b64 s[8:9], exec, s[52:53]
	s_cbranch_execz .LBB12_24
; %bb.23:                               ;   in Loop: Header=BB12_9 Depth=1
	global_load_dwordx4 v[22:25], v[16:17], off offset:-8
	v_add_u32_e32 v8, v18, v20
	v_lshl_add_u64 v[28:29], v[8:9], 4, s[44:45]
	global_load_dwordx4 v[28:31], v[28:29], off
	s_waitcnt vmcnt(1)
	v_xor_b32_e32 v5, 0x80000000, v25
	v_cndmask_b32_e64 v25, v25, v5, s[6:7]
	s_waitcnt vmcnt(0)
	v_mul_f64 v[32:33], v[24:25], v[30:31]
	v_mul_f64 v[30:31], v[22:23], v[30:31]
	v_fma_f64 v[22:23], v[22:23], v[28:29], -v[32:33]
	v_fmac_f64_e32 v[30:31], v[24:25], v[28:29]
	v_add_f64 v[0:1], v[0:1], v[22:23]
	v_add_f64 v[2:3], v[2:3], v[30:31]
.LBB12_24:                              ;   in Loop: Header=BB12_9 Depth=1
	s_andn2_saveexec_b64 s[8:9], s[8:9]
	s_cbranch_execz .LBB12_6
; %bb.25:                               ;   in Loop: Header=BB12_9 Depth=1
	v_cmp_eq_u32_e32 vcc, s30, v20
	s_and_saveexec_b64 s[52:53], vcc
	s_cbranch_execz .LBB12_5
; %bb.26:                               ;   in Loop: Header=BB12_9 Depth=1
	s_mov_b64 s[54:55], -1
	s_and_b64 vcc, exec, s[42:43]
                                        ; implicit-def: $vgpr22_vgpr23
                                        ; implicit-def: $vgpr24_vgpr25
	s_cbranch_vccz .LBB12_28
; %bb.27:                               ;   in Loop: Header=BB12_9 Depth=1
	global_load_dwordx4 v[22:25], v[16:17], off offset:-8
	global_load_dwordx4 v[28:31], v[12:13], off
	s_mov_b64 s[54:55], 0
	s_waitcnt vmcnt(1)
	v_xor_b32_e32 v5, 0x80000000, v25
	v_cndmask_b32_e64 v25, v25, v5, s[6:7]
	s_waitcnt vmcnt(0)
	v_mul_f64 v[32:33], v[22:23], v[30:31]
	v_mul_f64 v[30:31], v[24:25], v[30:31]
	v_fmac_f64_e32 v[32:33], v[24:25], v[28:29]
	v_fma_f64 v[24:25], v[22:23], v[28:29], -v[30:31]
	v_add_f64 v[22:23], v[2:3], v[32:33]
	v_add_f64 v[24:25], v[0:1], v[24:25]
.LBB12_28:                              ;   in Loop: Header=BB12_9 Depth=1
	s_andn2_b64 vcc, exec, s[54:55]
	s_cbranch_vccnz .LBB12_4
; %bb.29:                               ;   in Loop: Header=BB12_9 Depth=1
	global_load_dwordx4 v[28:31], v[12:13], off
	s_waitcnt vmcnt(0)
	v_add_f64 v[24:25], v[0:1], v[28:29]
	v_add_f64 v[22:23], v[2:3], v[30:31]
	s_branch .LBB12_4
.LBB12_30:
	s_or_b64 exec, exec, s[46:47]
.LBB12_31:
	s_or_b64 exec, exec, s[38:39]
	s_mov_b64 s[4:5], 0
.LBB12_32:
	s_andn2_b64 vcc, exec, s[4:5]
	s_cbranch_vccnz .LBB12_58
; %bb.33:
	v_cmp_gt_i32_e32 vcc, s29, v4
	v_mov_b64_e32 v[0:1], 0
	v_mov_b64_e32 v[2:3], 0
	s_and_saveexec_b64 s[38:39], vcc
	s_cbranch_execz .LBB12_57
; %bb.34:
	s_and_b64 s[4:5], s[34:35], exec
	s_cselect_b32 s28, s30, 0
	s_and_b64 s[4:5], s[34:35], s[36:37]
	s_xor_b64 s[40:41], s[4:5], -1
	s_xor_b64 s[4:5], s[36:37], -1
	s_cmp_lg_u32 s30, 0
	s_cselect_b64 s[8:9], -1, 0
	s_and_b64 s[8:9], s[34:35], s[8:9]
	s_nor_b64 s[4:5], s[8:9], s[4:5]
	s_ashr_i32 s31, s30, 31
	s_add_i32 s28, s28, s2
	s_lshl_b64 s[8:9], s[18:19], 4
	s_add_u32 s8, s20, s8
	v_cmp_gt_i32_e64 s[6:7], s29, v6
	v_add_u32_e32 v0, s28, v15
	v_lshlrev_b32_e32 v6, 4, v4
	v_mov_b32_e32 v7, 0
	s_addc_u32 s9, s21, s9
	v_sub_u32_e32 v5, v0, v4
	v_lshl_add_u64 v[0:1], s[8:9], 0, v[6:7]
	v_lshl_add_u64 v[8:9], v[0:1], 0, 8
	v_mad_u64_u32 v[0:1], s[8:9], s16, v4, 0
	v_mov_b32_e32 v2, v1
	v_mad_u64_u32 v[2:3], s[8:9], s17, v4, v[2:3]
	s_lshl_b64 s[8:9], s[10:11], 4
	s_lshl_b64 s[10:11], s[14:15], 4
	s_add_u32 s10, s12, s10
	s_addc_u32 s11, s13, s11
	s_add_u32 s8, s10, s8
	v_mov_b32_e32 v1, v2
	s_addc_u32 s9, s11, s9
	v_lshl_add_u64 v[0:1], v[0:1], 4, s[8:9]
	v_lshl_add_u64 v[10:11], v[0:1], 0, 8
	v_mov_b64_e32 v[2:3], 0
	v_cndmask_b32_e64 v0, 0, 1, s[4:5]
	s_lshl_b64 s[10:11], s[16:17], 8
	s_lshl_b64 s[12:13], s[30:31], 4
	s_mov_b64 s[14:15], 0
	v_cmp_ne_u32_e64 s[4:5], 1, v0
	s_mov_b64 s[16:17], 0x100
	v_mov_b32_e32 v6, v5
	v_mov_b64_e32 v[0:1], v[2:3]
	s_branch .LBB12_37
.LBB12_35:                              ;   in Loop: Header=BB12_37 Depth=1
	s_or_b64 exec, exec, s[8:9]
.LBB12_36:                              ;   in Loop: Header=BB12_37 Depth=1
	s_or_b64 exec, exec, s[18:19]
	v_add_u32_e32 v4, 16, v4
	v_cmp_le_i32_e32 vcc, s29, v4
	v_add_u32_e32 v6, -16, v6
	v_lshl_add_u64 v[8:9], v[8:9], 0, s[16:17]
	s_or_b64 s[14:15], vcc, s[14:15]
	v_lshl_add_u64 v[10:11], v[10:11], 0, s[10:11]
	s_andn2_b64 exec, exec, s[14:15]
	s_cbranch_execz .LBB12_56
.LBB12_37:                              ; =>This Inner Loop Header: Depth=1
	s_and_saveexec_b64 s[18:19], s[6:7]
	s_cbranch_execz .LBB12_36
; %bb.38:                               ;   in Loop: Header=BB12_37 Depth=1
	v_cmp_le_i32_e32 vcc, s30, v6
	v_cmp_gt_i32_e64 s[8:9], 1, v6
	s_or_b64 s[8:9], vcc, s[8:9]
	s_and_saveexec_b64 s[20:21], s[8:9]
	s_xor_b64 s[8:9], exec, s[20:21]
	s_cbranch_execz .LBB12_54
; %bb.39:                               ;   in Loop: Header=BB12_37 Depth=1
	v_cmp_ne_u32_e32 vcc, 0, v6
	s_and_saveexec_b64 s[20:21], vcc
	s_xor_b64 s[20:21], exec, s[20:21]
	s_cbranch_execz .LBB12_47
; %bb.40:                               ;   in Loop: Header=BB12_37 Depth=1
	v_cmp_eq_u32_e32 vcc, s30, v6
	s_and_saveexec_b64 s[34:35], vcc
	s_cbranch_execz .LBB12_46
; %bb.41:                               ;   in Loop: Header=BB12_37 Depth=1
	s_mov_b64 s[36:37], -1
	s_and_b64 vcc, exec, s[40:41]
                                        ; implicit-def: $vgpr14_vgpr15
                                        ; implicit-def: $vgpr12_vgpr13
	s_cbranch_vccz .LBB12_43
; %bb.42:                               ;   in Loop: Header=BB12_37 Depth=1
	v_lshl_add_u64 v[16:17], v[10:11], 0, s[12:13]
	global_load_dwordx4 v[12:15], v[8:9], off offset:-8
	global_load_dwordx4 v[20:23], v[16:17], off offset:-8
	s_mov_b64 s[36:37], 0
	s_waitcnt vmcnt(0)
	v_mul_f64 v[16:17], v[14:15], v[22:23]
	v_mul_f64 v[22:23], v[12:13], v[22:23]
	v_fma_f64 v[12:13], v[12:13], v[20:21], -v[16:17]
	v_fmac_f64_e32 v[22:23], v[14:15], v[20:21]
	v_add_f64 v[12:13], v[0:1], v[12:13]
	v_add_f64 v[14:15], v[2:3], v[22:23]
.LBB12_43:                              ;   in Loop: Header=BB12_37 Depth=1
	s_andn2_b64 vcc, exec, s[36:37]
	s_cbranch_vccnz .LBB12_45
; %bb.44:                               ;   in Loop: Header=BB12_37 Depth=1
	global_load_dwordx4 v[12:15], v[8:9], off offset:-8
	s_waitcnt vmcnt(0)
	v_add_f64 v[12:13], v[0:1], v[12:13]
	v_add_f64 v[14:15], v[2:3], v[14:15]
.LBB12_45:                              ;   in Loop: Header=BB12_37 Depth=1
	v_mov_b64_e32 v[2:3], v[14:15]
	v_mov_b64_e32 v[0:1], v[12:13]
.LBB12_46:                              ;   in Loop: Header=BB12_37 Depth=1
	s_or_b64 exec, exec, s[34:35]
.LBB12_47:                              ;   in Loop: Header=BB12_37 Depth=1
	s_andn2_saveexec_b64 s[20:21], s[20:21]
	s_cbranch_execz .LBB12_53
; %bb.48:                               ;   in Loop: Header=BB12_37 Depth=1
	s_and_b64 vcc, exec, s[4:5]
	s_mov_b64 s[34:35], -1
                                        ; implicit-def: $vgpr14_vgpr15
                                        ; implicit-def: $vgpr12_vgpr13
	s_cbranch_vccnz .LBB12_50
; %bb.49:                               ;   in Loop: Header=BB12_37 Depth=1
	global_load_dwordx4 v[12:15], v[8:9], off offset:-8
	s_mov_b64 s[34:35], 0
	s_waitcnt vmcnt(0)
	v_add_f64 v[12:13], v[0:1], v[12:13]
	v_add_f64 v[14:15], v[2:3], v[14:15]
.LBB12_50:                              ;   in Loop: Header=BB12_37 Depth=1
	s_andn2_b64 vcc, exec, s[34:35]
	s_cbranch_vccnz .LBB12_52
; %bb.51:                               ;   in Loop: Header=BB12_37 Depth=1
	global_load_dwordx4 v[12:15], v[8:9], off offset:-8
	global_load_dwordx4 v[20:23], v[10:11], off offset:-8
	s_waitcnt vmcnt(0)
	v_mul_f64 v[16:17], v[14:15], v[22:23]
	v_mul_f64 v[22:23], v[12:13], v[22:23]
	v_fma_f64 v[12:13], v[12:13], v[20:21], -v[16:17]
	v_fmac_f64_e32 v[22:23], v[14:15], v[20:21]
	v_add_f64 v[12:13], v[0:1], v[12:13]
	v_add_f64 v[14:15], v[2:3], v[22:23]
.LBB12_52:                              ;   in Loop: Header=BB12_37 Depth=1
	v_mov_b64_e32 v[2:3], v[14:15]
	v_mov_b64_e32 v[0:1], v[12:13]
.LBB12_53:                              ;   in Loop: Header=BB12_37 Depth=1
	s_or_b64 exec, exec, s[20:21]
.LBB12_54:                              ;   in Loop: Header=BB12_37 Depth=1
	s_andn2_saveexec_b64 s[8:9], s[8:9]
	s_cbranch_execz .LBB12_35
; %bb.55:                               ;   in Loop: Header=BB12_37 Depth=1
	v_lshl_add_u64 v[16:17], v[6:7], 4, v[10:11]
	global_load_dwordx4 v[12:15], v[8:9], off offset:-8
	global_load_dwordx4 v[20:23], v[16:17], off offset:-8
	s_waitcnt vmcnt(0)
	v_mul_f64 v[16:17], v[14:15], v[22:23]
	v_mul_f64 v[22:23], v[12:13], v[22:23]
	v_fma_f64 v[12:13], v[12:13], v[20:21], -v[16:17]
	v_fmac_f64_e32 v[22:23], v[14:15], v[20:21]
	v_add_f64 v[0:1], v[0:1], v[12:13]
	v_add_f64 v[2:3], v[2:3], v[22:23]
	s_branch .LBB12_35
.LBB12_56:
	s_or_b64 exec, exec, s[14:15]
.LBB12_57:
	s_or_b64 exec, exec, s[38:39]
.LBB12_58:
	v_lshlrev_b32_e32 v4, 4, v19
	ds_write_b128 v4, v[0:3]
	v_add_u32_e32 v0, s2, v19
	v_cmp_gt_u32_e32 vcc, 64, v19
	v_cmp_gt_i32_e64 s[4:5], s29, v0
	s_and_b64 s[4:5], vcc, s[4:5]
	s_waitcnt lgkmcnt(0)
	s_barrier
	s_and_saveexec_b64 s[6:7], s[4:5]
	s_cbranch_execz .LBB12_60
; %bb.59:
	s_load_dwordx2 s[0:1], s[0:1], 0x50
	ds_read_b128 v[6:9], v4
	ds_read_b128 v[10:13], v4 offset:1024
	ds_read_b128 v[14:17], v4 offset:2048
	ds_read_b128 v[18:21], v4 offset:3072
	v_ashrrev_i32_e32 v1, 31, v0
	s_waitcnt lgkmcnt(0)
	s_mul_i32 s1, s1, s3
	v_add_f64 v[2:3], v[6:7], v[10:11]
	v_add_f64 v[10:11], v[8:9], v[12:13]
	ds_read_b128 v[6:9], v4 offset:4096
	v_add_f64 v[2:3], v[2:3], v[14:15]
	v_add_f64 v[14:15], v[10:11], v[16:17]
	ds_read_b128 v[10:13], v4 offset:5120
	;; [unrolled: 3-line block ×3, first 2 shown]
	s_waitcnt lgkmcnt(2)
	v_add_f64 v[2:3], v[2:3], v[6:7]
	v_add_f64 v[18:19], v[18:19], v[8:9]
	ds_read_b128 v[6:9], v4 offset:7168
	s_waitcnt lgkmcnt(2)
	v_add_f64 v[2:3], v[2:3], v[10:11]
	v_add_f64 v[18:19], v[18:19], v[12:13]
	ds_read_b128 v[10:13], v4 offset:8192
	s_waitcnt lgkmcnt(2)
	v_add_f64 v[2:3], v[2:3], v[14:15]
	v_add_f64 v[18:19], v[18:19], v[16:17]
	ds_read_b128 v[14:17], v4 offset:9216
	s_waitcnt lgkmcnt(2)
	v_add_f64 v[2:3], v[2:3], v[6:7]
	v_add_f64 v[18:19], v[18:19], v[8:9]
	ds_read_b128 v[6:9], v4 offset:10240
	s_waitcnt lgkmcnt(2)
	v_add_f64 v[2:3], v[2:3], v[10:11]
	v_add_f64 v[18:19], v[18:19], v[12:13]
	ds_read_b128 v[10:13], v4 offset:11264
	s_waitcnt lgkmcnt(2)
	v_add_f64 v[2:3], v[2:3], v[14:15]
	v_add_f64 v[18:19], v[18:19], v[16:17]
	ds_read_b128 v[14:17], v4 offset:12288
	s_waitcnt lgkmcnt(2)
	v_add_f64 v[2:3], v[2:3], v[6:7]
	v_add_f64 v[6:7], v[18:19], v[8:9]
	s_waitcnt lgkmcnt(1)
	v_add_f64 v[18:19], v[6:7], v[12:13]
	ds_read_b128 v[6:9], v4 offset:13312
	s_mul_hi_u32 s2, s0, s3
	v_add_f64 v[2:3], v[2:3], v[10:11]
	ds_read_b128 v[10:13], v4 offset:14336
	s_mul_i32 s0, s0, s3
	s_add_i32 s1, s2, s1
	s_waitcnt lgkmcnt(2)
	v_add_f64 v[2:3], v[2:3], v[14:15]
	v_add_f64 v[18:19], v[18:19], v[16:17]
	ds_read_b128 v[14:17], v4 offset:15360
	s_lshl_b64 s[0:1], s[0:1], 4
	s_add_u32 s2, s22, s0
	s_addc_u32 s3, s23, s1
	s_lshl_b64 s[0:1], s[24:25], 4
	s_waitcnt lgkmcnt(2)
	v_add_f64 v[2:3], v[2:3], v[6:7]
	s_add_u32 s0, s2, s0
	v_add_f64 v[6:7], v[18:19], v[8:9]
	s_waitcnt lgkmcnt(1)
	v_add_f64 v[2:3], v[2:3], v[10:11]
	s_addc_u32 s1, s3, s1
	v_add_f64 v[8:9], v[6:7], v[12:13]
	s_waitcnt lgkmcnt(0)
	v_add_f64 v[6:7], v[2:3], v[14:15]
	v_mul_lo_u32 v2, s27, v0
	v_mul_lo_u32 v3, s26, v1
	v_mad_u64_u32 v[0:1], s[2:3], s26, v0, 0
	v_add3_u32 v1, v1, v3, v2
	v_add_f64 v[8:9], v[8:9], v[16:17]
	v_lshl_add_u64 v[0:1], v[0:1], 4, s[0:1]
	ds_write_b128 v4, v[6:9]
	global_store_dwordx4 v[0:1], v[6:9], off
.LBB12_60:
	s_endpgm
	.section	.rodata,"a",@progbits
	.p2align	6, 0x0
	.amdhsa_kernel _ZL20rocblas_tbmvx_kernelILi64ELi16EPK19rocblas_complex_numIdEPS1_Ev18rocblas_operation_bbiiT1_lllS6_T2_llli
		.amdhsa_group_segment_fixed_size 16384
		.amdhsa_private_segment_fixed_size 0
		.amdhsa_kernarg_size 352
		.amdhsa_user_sgpr_count 2
		.amdhsa_user_sgpr_dispatch_ptr 0
		.amdhsa_user_sgpr_queue_ptr 0
		.amdhsa_user_sgpr_kernarg_segment_ptr 1
		.amdhsa_user_sgpr_dispatch_id 0
		.amdhsa_user_sgpr_kernarg_preload_length 0
		.amdhsa_user_sgpr_kernarg_preload_offset 0
		.amdhsa_user_sgpr_private_segment_size 0
		.amdhsa_uses_dynamic_stack 0
		.amdhsa_enable_private_segment 0
		.amdhsa_system_sgpr_workgroup_id_x 1
		.amdhsa_system_sgpr_workgroup_id_y 0
		.amdhsa_system_sgpr_workgroup_id_z 1
		.amdhsa_system_sgpr_workgroup_info 0
		.amdhsa_system_vgpr_workitem_id 1
		.amdhsa_next_free_vgpr 34
		.amdhsa_next_free_sgpr 56
		.amdhsa_accum_offset 36
		.amdhsa_reserve_vcc 1
		.amdhsa_float_round_mode_32 0
		.amdhsa_float_round_mode_16_64 0
		.amdhsa_float_denorm_mode_32 3
		.amdhsa_float_denorm_mode_16_64 3
		.amdhsa_dx10_clamp 1
		.amdhsa_ieee_mode 1
		.amdhsa_fp16_overflow 0
		.amdhsa_tg_split 0
		.amdhsa_exception_fp_ieee_invalid_op 0
		.amdhsa_exception_fp_denorm_src 0
		.amdhsa_exception_fp_ieee_div_zero 0
		.amdhsa_exception_fp_ieee_overflow 0
		.amdhsa_exception_fp_ieee_underflow 0
		.amdhsa_exception_fp_ieee_inexact 0
		.amdhsa_exception_int_div_zero 0
	.end_amdhsa_kernel
	.section	.text._ZL20rocblas_tbmvx_kernelILi64ELi16EPK19rocblas_complex_numIdEPS1_Ev18rocblas_operation_bbiiT1_lllS6_T2_llli,"axG",@progbits,_ZL20rocblas_tbmvx_kernelILi64ELi16EPK19rocblas_complex_numIdEPS1_Ev18rocblas_operation_bbiiT1_lllS6_T2_llli,comdat
.Lfunc_end12:
	.size	_ZL20rocblas_tbmvx_kernelILi64ELi16EPK19rocblas_complex_numIdEPS1_Ev18rocblas_operation_bbiiT1_lllS6_T2_llli, .Lfunc_end12-_ZL20rocblas_tbmvx_kernelILi64ELi16EPK19rocblas_complex_numIdEPS1_Ev18rocblas_operation_bbiiT1_lllS6_T2_llli
                                        ; -- End function
	.set _ZL20rocblas_tbmvx_kernelILi64ELi16EPK19rocblas_complex_numIdEPS1_Ev18rocblas_operation_bbiiT1_lllS6_T2_llli.num_vgpr, 34
	.set _ZL20rocblas_tbmvx_kernelILi64ELi16EPK19rocblas_complex_numIdEPS1_Ev18rocblas_operation_bbiiT1_lllS6_T2_llli.num_agpr, 0
	.set _ZL20rocblas_tbmvx_kernelILi64ELi16EPK19rocblas_complex_numIdEPS1_Ev18rocblas_operation_bbiiT1_lllS6_T2_llli.numbered_sgpr, 56
	.set _ZL20rocblas_tbmvx_kernelILi64ELi16EPK19rocblas_complex_numIdEPS1_Ev18rocblas_operation_bbiiT1_lllS6_T2_llli.num_named_barrier, 0
	.set _ZL20rocblas_tbmvx_kernelILi64ELi16EPK19rocblas_complex_numIdEPS1_Ev18rocblas_operation_bbiiT1_lllS6_T2_llli.private_seg_size, 0
	.set _ZL20rocblas_tbmvx_kernelILi64ELi16EPK19rocblas_complex_numIdEPS1_Ev18rocblas_operation_bbiiT1_lllS6_T2_llli.uses_vcc, 1
	.set _ZL20rocblas_tbmvx_kernelILi64ELi16EPK19rocblas_complex_numIdEPS1_Ev18rocblas_operation_bbiiT1_lllS6_T2_llli.uses_flat_scratch, 0
	.set _ZL20rocblas_tbmvx_kernelILi64ELi16EPK19rocblas_complex_numIdEPS1_Ev18rocblas_operation_bbiiT1_lllS6_T2_llli.has_dyn_sized_stack, 0
	.set _ZL20rocblas_tbmvx_kernelILi64ELi16EPK19rocblas_complex_numIdEPS1_Ev18rocblas_operation_bbiiT1_lllS6_T2_llli.has_recursion, 0
	.set _ZL20rocblas_tbmvx_kernelILi64ELi16EPK19rocblas_complex_numIdEPS1_Ev18rocblas_operation_bbiiT1_lllS6_T2_llli.has_indirect_call, 0
	.section	.AMDGPU.csdata,"",@progbits
; Kernel info:
; codeLenInByte = 2472
; TotalNumSgprs: 62
; NumVgprs: 34
; NumAgprs: 0
; TotalNumVgprs: 34
; ScratchSize: 0
; MemoryBound: 1
; FloatMode: 240
; IeeeMode: 1
; LDSByteSize: 16384 bytes/workgroup (compile time only)
; SGPRBlocks: 7
; VGPRBlocks: 4
; NumSGPRsForWavesPerEU: 62
; NumVGPRsForWavesPerEU: 34
; AccumOffset: 36
; Occupancy: 8
; WaveLimiterHint : 0
; COMPUTE_PGM_RSRC2:SCRATCH_EN: 0
; COMPUTE_PGM_RSRC2:USER_SGPR: 2
; COMPUTE_PGM_RSRC2:TRAP_HANDLER: 0
; COMPUTE_PGM_RSRC2:TGID_X_EN: 1
; COMPUTE_PGM_RSRC2:TGID_Y_EN: 0
; COMPUTE_PGM_RSRC2:TGID_Z_EN: 1
; COMPUTE_PGM_RSRC2:TIDIG_COMP_CNT: 1
; COMPUTE_PGM_RSRC3_GFX90A:ACCUM_OFFSET: 8
; COMPUTE_PGM_RSRC3_GFX90A:TG_SPLIT: 0
	.section	.text._ZL19rocblas_copy_kernelIlLi256EPKPfS2_EviT1_lT_lT2_lS4_li,"axG",@progbits,_ZL19rocblas_copy_kernelIlLi256EPKPfS2_EviT1_lT_lT2_lS4_li,comdat
	.globl	_ZL19rocblas_copy_kernelIlLi256EPKPfS2_EviT1_lT_lT2_lS4_li ; -- Begin function _ZL19rocblas_copy_kernelIlLi256EPKPfS2_EviT1_lT_lT2_lS4_li
	.p2align	8
	.type	_ZL19rocblas_copy_kernelIlLi256EPKPfS2_EviT1_lT_lT2_lS4_li,@function
_ZL19rocblas_copy_kernelIlLi256EPKPfS2_EviT1_lT_lT2_lS4_li: ; @_ZL19rocblas_copy_kernelIlLi256EPKPfS2_EviT1_lT_lT2_lS4_li
; %bb.0:
	s_load_dword s6, s[0:1], 0x0
	v_lshl_or_b32 v0, s2, 8, v0
	v_mov_b32_e32 v1, 0
	s_mov_b32 s4, s3
	s_waitcnt lgkmcnt(0)
	s_ashr_i32 s7, s6, 31
	v_cmp_gt_i64_e32 vcc, s[6:7], v[0:1]
	s_and_saveexec_b64 s[2:3], vcc
	s_cbranch_execz .LBB13_2
; %bb.1:
	s_load_dwordx4 s[8:11], s[0:1], 0x28
	s_load_dwordx2 s[2:3], s[0:1], 0x18
	s_load_dwordx2 s[12:13], s[0:1], 0x38
	s_mov_b32 s5, 0
	s_lshl_b64 s[14:15], s[4:5], 3
	s_waitcnt lgkmcnt(0)
	s_add_u32 s8, s8, s14
	s_addc_u32 s9, s9, s15
	s_load_dwordx2 s[16:17], s[8:9], 0x0
	s_load_dwordx4 s[4:7], s[0:1], 0x8
	v_mad_u64_u32 v[2:3], s[0:1], s2, v0, 0
	s_lshl_b64 s[0:1], s[10:11], 2
	s_waitcnt lgkmcnt(0)
	s_add_u32 s0, s16, s0
	s_addc_u32 s1, s17, s1
	s_add_u32 s4, s4, s14
	s_addc_u32 s5, s5, s15
	s_load_dwordx2 s[4:5], s[4:5], 0x0
	v_mov_b32_e32 v4, v3
	v_mad_u64_u32 v[4:5], s[2:3], s3, v0, v[4:5]
	s_lshl_b64 s[2:3], s[6:7], 2
	s_waitcnt lgkmcnt(0)
	s_add_u32 s2, s4, s2
	s_addc_u32 s3, s5, s3
	v_mov_b32_e32 v3, v4
	v_lshl_add_u64 v[2:3], v[2:3], 2, s[2:3]
	flat_load_dword v5, v[2:3]
	v_mad_u64_u32 v[2:3], s[2:3], s12, v0, 0
	v_mov_b32_e32 v4, v3
	s_waitcnt vmcnt(0) lgkmcnt(0)
	v_mad_u64_u32 v[0:1], s[2:3], s13, v0, v[4:5]
	v_mov_b32_e32 v3, v0
	v_lshl_add_u64 v[0:1], v[2:3], 2, s[0:1]
	flat_store_dword v[0:1], v5
.LBB13_2:
	s_endpgm
	.section	.rodata,"a",@progbits
	.p2align	6, 0x0
	.amdhsa_kernel _ZL19rocblas_copy_kernelIlLi256EPKPfS2_EviT1_lT_lT2_lS4_li
		.amdhsa_group_segment_fixed_size 0
		.amdhsa_private_segment_fixed_size 0
		.amdhsa_kernarg_size 76
		.amdhsa_user_sgpr_count 2
		.amdhsa_user_sgpr_dispatch_ptr 0
		.amdhsa_user_sgpr_queue_ptr 0
		.amdhsa_user_sgpr_kernarg_segment_ptr 1
		.amdhsa_user_sgpr_dispatch_id 0
		.amdhsa_user_sgpr_kernarg_preload_length 0
		.amdhsa_user_sgpr_kernarg_preload_offset 0
		.amdhsa_user_sgpr_private_segment_size 0
		.amdhsa_uses_dynamic_stack 0
		.amdhsa_enable_private_segment 0
		.amdhsa_system_sgpr_workgroup_id_x 1
		.amdhsa_system_sgpr_workgroup_id_y 0
		.amdhsa_system_sgpr_workgroup_id_z 1
		.amdhsa_system_sgpr_workgroup_info 0
		.amdhsa_system_vgpr_workitem_id 0
		.amdhsa_next_free_vgpr 6
		.amdhsa_next_free_sgpr 18
		.amdhsa_accum_offset 8
		.amdhsa_reserve_vcc 1
		.amdhsa_float_round_mode_32 0
		.amdhsa_float_round_mode_16_64 0
		.amdhsa_float_denorm_mode_32 3
		.amdhsa_float_denorm_mode_16_64 3
		.amdhsa_dx10_clamp 1
		.amdhsa_ieee_mode 1
		.amdhsa_fp16_overflow 0
		.amdhsa_tg_split 0
		.amdhsa_exception_fp_ieee_invalid_op 0
		.amdhsa_exception_fp_denorm_src 0
		.amdhsa_exception_fp_ieee_div_zero 0
		.amdhsa_exception_fp_ieee_overflow 0
		.amdhsa_exception_fp_ieee_underflow 0
		.amdhsa_exception_fp_ieee_inexact 0
		.amdhsa_exception_int_div_zero 0
	.end_amdhsa_kernel
	.section	.text._ZL19rocblas_copy_kernelIlLi256EPKPfS2_EviT1_lT_lT2_lS4_li,"axG",@progbits,_ZL19rocblas_copy_kernelIlLi256EPKPfS2_EviT1_lT_lT2_lS4_li,comdat
.Lfunc_end13:
	.size	_ZL19rocblas_copy_kernelIlLi256EPKPfS2_EviT1_lT_lT2_lS4_li, .Lfunc_end13-_ZL19rocblas_copy_kernelIlLi256EPKPfS2_EviT1_lT_lT2_lS4_li
                                        ; -- End function
	.set _ZL19rocblas_copy_kernelIlLi256EPKPfS2_EviT1_lT_lT2_lS4_li.num_vgpr, 6
	.set _ZL19rocblas_copy_kernelIlLi256EPKPfS2_EviT1_lT_lT2_lS4_li.num_agpr, 0
	.set _ZL19rocblas_copy_kernelIlLi256EPKPfS2_EviT1_lT_lT2_lS4_li.numbered_sgpr, 18
	.set _ZL19rocblas_copy_kernelIlLi256EPKPfS2_EviT1_lT_lT2_lS4_li.num_named_barrier, 0
	.set _ZL19rocblas_copy_kernelIlLi256EPKPfS2_EviT1_lT_lT2_lS4_li.private_seg_size, 0
	.set _ZL19rocblas_copy_kernelIlLi256EPKPfS2_EviT1_lT_lT2_lS4_li.uses_vcc, 1
	.set _ZL19rocblas_copy_kernelIlLi256EPKPfS2_EviT1_lT_lT2_lS4_li.uses_flat_scratch, 0
	.set _ZL19rocblas_copy_kernelIlLi256EPKPfS2_EviT1_lT_lT2_lS4_li.has_dyn_sized_stack, 0
	.set _ZL19rocblas_copy_kernelIlLi256EPKPfS2_EviT1_lT_lT2_lS4_li.has_recursion, 0
	.set _ZL19rocblas_copy_kernelIlLi256EPKPfS2_EviT1_lT_lT2_lS4_li.has_indirect_call, 0
	.section	.AMDGPU.csdata,"",@progbits
; Kernel info:
; codeLenInByte = 240
; TotalNumSgprs: 24
; NumVgprs: 6
; NumAgprs: 0
; TotalNumVgprs: 6
; ScratchSize: 0
; MemoryBound: 0
; FloatMode: 240
; IeeeMode: 1
; LDSByteSize: 0 bytes/workgroup (compile time only)
; SGPRBlocks: 2
; VGPRBlocks: 0
; NumSGPRsForWavesPerEU: 24
; NumVGPRsForWavesPerEU: 6
; AccumOffset: 8
; Occupancy: 8
; WaveLimiterHint : 1
; COMPUTE_PGM_RSRC2:SCRATCH_EN: 0
; COMPUTE_PGM_RSRC2:USER_SGPR: 2
; COMPUTE_PGM_RSRC2:TRAP_HANDLER: 0
; COMPUTE_PGM_RSRC2:TGID_X_EN: 1
; COMPUTE_PGM_RSRC2:TGID_Y_EN: 0
; COMPUTE_PGM_RSRC2:TGID_Z_EN: 1
; COMPUTE_PGM_RSRC2:TIDIG_COMP_CNT: 0
; COMPUTE_PGM_RSRC3_GFX90A:ACCUM_OFFSET: 1
; COMPUTE_PGM_RSRC3_GFX90A:TG_SPLIT: 0
	.section	.text._ZL22rocblas_scopy_2_kernelILi256EPKPfS2_EviT0_llT1_lli,"axG",@progbits,_ZL22rocblas_scopy_2_kernelILi256EPKPfS2_EviT0_llT1_lli,comdat
	.globl	_ZL22rocblas_scopy_2_kernelILi256EPKPfS2_EviT0_llT1_lli ; -- Begin function _ZL22rocblas_scopy_2_kernelILi256EPKPfS2_EviT0_llT1_lli
	.p2align	8
	.type	_ZL22rocblas_scopy_2_kernelILi256EPKPfS2_EviT0_llT1_lli,@function
_ZL22rocblas_scopy_2_kernelILi256EPKPfS2_EviT0_llT1_lli: ; @_ZL22rocblas_scopy_2_kernelILi256EPKPfS2_EviT0_llT1_lli
; %bb.0:
	s_load_dwordx4 s[4:7], s[0:1], 0x8
	s_mov_b32 s8, s3
	s_mov_b32 s9, 0
	s_lshl_b64 s[10:11], s[8:9], 3
	v_lshlrev_b32_e32 v0, 1, v0
	s_waitcnt lgkmcnt(0)
	s_add_u32 s4, s4, s10
	s_addc_u32 s5, s5, s11
	s_load_dwordx2 s[16:17], s[4:5], 0x0
	s_load_dwordx4 s[12:15], s[0:1], 0x20
	s_load_dword s8, s[0:1], 0x0
	s_lshl_b64 s[0:1], s[6:7], 2
	v_lshl_or_b32 v0, s2, 9, v0
	s_waitcnt lgkmcnt(0)
	s_add_u32 s0, s16, s0
	s_addc_u32 s1, s17, s1
	s_add_u32 s4, s12, s10
	s_addc_u32 s5, s13, s11
	s_load_dwordx2 s[4:5], s[4:5], 0x0
	s_lshl_b64 s[2:3], s[14:15], 2
	v_mov_b32_e32 v1, 0
	v_lshlrev_b64 v[2:3], 2, v[0:1]
	s_waitcnt lgkmcnt(0)
	s_add_u32 s2, s4, s2
	s_addc_u32 s3, s5, s3
	s_add_i32 s4, s8, -1
	s_ashr_i32 s5, s4, 31
	v_cmp_gt_i64_e32 vcc, s[4:5], v[0:1]
	s_and_saveexec_b64 s[6:7], vcc
	s_cbranch_execz .LBB14_2
; %bb.1:
	v_lshl_add_u64 v[4:5], s[0:1], 0, v[2:3]
	flat_load_dword v8, v[4:5]
	v_lshl_add_u64 v[6:7], s[2:3], 0, v[2:3]
	s_waitcnt vmcnt(0) lgkmcnt(0)
	flat_store_dword v[6:7], v8
	flat_load_dword v4, v[4:5] offset:4
	s_waitcnt vmcnt(0) lgkmcnt(0)
	flat_store_dword v[6:7], v4 offset:4
.LBB14_2:
	s_or_b64 exec, exec, s[6:7]
	s_bitcmp1_b32 s8, 0
	s_cselect_b64 s[6:7], -1, 0
	v_cmp_eq_u64_e32 vcc, s[4:5], v[0:1]
	s_and_b64 s[4:5], s[6:7], vcc
	s_and_saveexec_b64 s[6:7], s[4:5]
	s_cbranch_execz .LBB14_4
; %bb.3:
	v_lshl_add_u64 v[0:1], s[0:1], 0, v[2:3]
	flat_load_dword v4, v[0:1]
	v_lshl_add_u64 v[0:1], s[2:3], 0, v[2:3]
	s_waitcnt vmcnt(0) lgkmcnt(0)
	flat_store_dword v[0:1], v4
.LBB14_4:
	s_endpgm
	.section	.rodata,"a",@progbits
	.p2align	6, 0x0
	.amdhsa_kernel _ZL22rocblas_scopy_2_kernelILi256EPKPfS2_EviT0_llT1_lli
		.amdhsa_group_segment_fixed_size 0
		.amdhsa_private_segment_fixed_size 0
		.amdhsa_kernarg_size 60
		.amdhsa_user_sgpr_count 2
		.amdhsa_user_sgpr_dispatch_ptr 0
		.amdhsa_user_sgpr_queue_ptr 0
		.amdhsa_user_sgpr_kernarg_segment_ptr 1
		.amdhsa_user_sgpr_dispatch_id 0
		.amdhsa_user_sgpr_kernarg_preload_length 0
		.amdhsa_user_sgpr_kernarg_preload_offset 0
		.amdhsa_user_sgpr_private_segment_size 0
		.amdhsa_uses_dynamic_stack 0
		.amdhsa_enable_private_segment 0
		.amdhsa_system_sgpr_workgroup_id_x 1
		.amdhsa_system_sgpr_workgroup_id_y 0
		.amdhsa_system_sgpr_workgroup_id_z 1
		.amdhsa_system_sgpr_workgroup_info 0
		.amdhsa_system_vgpr_workitem_id 0
		.amdhsa_next_free_vgpr 9
		.amdhsa_next_free_sgpr 18
		.amdhsa_accum_offset 12
		.amdhsa_reserve_vcc 1
		.amdhsa_float_round_mode_32 0
		.amdhsa_float_round_mode_16_64 0
		.amdhsa_float_denorm_mode_32 3
		.amdhsa_float_denorm_mode_16_64 3
		.amdhsa_dx10_clamp 1
		.amdhsa_ieee_mode 1
		.amdhsa_fp16_overflow 0
		.amdhsa_tg_split 0
		.amdhsa_exception_fp_ieee_invalid_op 0
		.amdhsa_exception_fp_denorm_src 0
		.amdhsa_exception_fp_ieee_div_zero 0
		.amdhsa_exception_fp_ieee_overflow 0
		.amdhsa_exception_fp_ieee_underflow 0
		.amdhsa_exception_fp_ieee_inexact 0
		.amdhsa_exception_int_div_zero 0
	.end_amdhsa_kernel
	.section	.text._ZL22rocblas_scopy_2_kernelILi256EPKPfS2_EviT0_llT1_lli,"axG",@progbits,_ZL22rocblas_scopy_2_kernelILi256EPKPfS2_EviT0_llT1_lli,comdat
.Lfunc_end14:
	.size	_ZL22rocblas_scopy_2_kernelILi256EPKPfS2_EviT0_llT1_lli, .Lfunc_end14-_ZL22rocblas_scopy_2_kernelILi256EPKPfS2_EviT0_llT1_lli
                                        ; -- End function
	.set _ZL22rocblas_scopy_2_kernelILi256EPKPfS2_EviT0_llT1_lli.num_vgpr, 9
	.set _ZL22rocblas_scopy_2_kernelILi256EPKPfS2_EviT0_llT1_lli.num_agpr, 0
	.set _ZL22rocblas_scopy_2_kernelILi256EPKPfS2_EviT0_llT1_lli.numbered_sgpr, 18
	.set _ZL22rocblas_scopy_2_kernelILi256EPKPfS2_EviT0_llT1_lli.num_named_barrier, 0
	.set _ZL22rocblas_scopy_2_kernelILi256EPKPfS2_EviT0_llT1_lli.private_seg_size, 0
	.set _ZL22rocblas_scopy_2_kernelILi256EPKPfS2_EviT0_llT1_lli.uses_vcc, 1
	.set _ZL22rocblas_scopy_2_kernelILi256EPKPfS2_EviT0_llT1_lli.uses_flat_scratch, 0
	.set _ZL22rocblas_scopy_2_kernelILi256EPKPfS2_EviT0_llT1_lli.has_dyn_sized_stack, 0
	.set _ZL22rocblas_scopy_2_kernelILi256EPKPfS2_EviT0_llT1_lli.has_recursion, 0
	.set _ZL22rocblas_scopy_2_kernelILi256EPKPfS2_EviT0_llT1_lli.has_indirect_call, 0
	.section	.AMDGPU.csdata,"",@progbits
; Kernel info:
; codeLenInByte = 272
; TotalNumSgprs: 24
; NumVgprs: 9
; NumAgprs: 0
; TotalNumVgprs: 9
; ScratchSize: 0
; MemoryBound: 0
; FloatMode: 240
; IeeeMode: 1
; LDSByteSize: 0 bytes/workgroup (compile time only)
; SGPRBlocks: 2
; VGPRBlocks: 1
; NumSGPRsForWavesPerEU: 24
; NumVGPRsForWavesPerEU: 9
; AccumOffset: 12
; Occupancy: 8
; WaveLimiterHint : 1
; COMPUTE_PGM_RSRC2:SCRATCH_EN: 0
; COMPUTE_PGM_RSRC2:USER_SGPR: 2
; COMPUTE_PGM_RSRC2:TRAP_HANDLER: 0
; COMPUTE_PGM_RSRC2:TGID_X_EN: 1
; COMPUTE_PGM_RSRC2:TGID_Y_EN: 0
; COMPUTE_PGM_RSRC2:TGID_Z_EN: 1
; COMPUTE_PGM_RSRC2:TIDIG_COMP_CNT: 0
; COMPUTE_PGM_RSRC3_GFX90A:ACCUM_OFFSET: 2
; COMPUTE_PGM_RSRC3_GFX90A:TG_SPLIT: 0
	.section	.text._ZL19rocblas_copy_kernelIiLi256EPKPfS2_EviT1_lT_lT2_lS4_li,"axG",@progbits,_ZL19rocblas_copy_kernelIiLi256EPKPfS2_EviT1_lT_lT2_lS4_li,comdat
	.globl	_ZL19rocblas_copy_kernelIiLi256EPKPfS2_EviT1_lT_lT2_lS4_li ; -- Begin function _ZL19rocblas_copy_kernelIiLi256EPKPfS2_EviT1_lT_lT2_lS4_li
	.p2align	8
	.type	_ZL19rocblas_copy_kernelIiLi256EPKPfS2_EviT1_lT_lT2_lS4_li,@function
_ZL19rocblas_copy_kernelIiLi256EPKPfS2_EviT1_lT_lT2_lS4_li: ; @_ZL19rocblas_copy_kernelIiLi256EPKPfS2_EviT1_lT_lT2_lS4_li
; %bb.0:
	s_load_dword s6, s[0:1], 0x0
	v_lshl_or_b32 v0, s2, 8, v0
	v_mov_b32_e32 v1, 0
	s_mov_b32 s4, s3
	s_waitcnt lgkmcnt(0)
	s_ashr_i32 s7, s6, 31
	v_cmp_gt_i64_e32 vcc, s[6:7], v[0:1]
	s_and_saveexec_b64 s[2:3], vcc
	s_cbranch_execz .LBB15_2
; %bb.1:
	s_load_dword s14, s[0:1], 0x18
	s_load_dword s15, s[0:1], 0x38
	s_load_dwordx4 s[8:11], s[0:1], 0x28
	s_mov_b32 s5, 0
	s_lshl_b64 s[2:3], s[4:5], 3
	s_waitcnt lgkmcnt(0)
	s_ashr_i32 s16, s14, 31
	s_ashr_i32 s17, s15, 31
	s_add_u32 s8, s8, s2
	s_addc_u32 s9, s9, s3
	s_load_dwordx2 s[12:13], s[8:9], 0x0
	s_load_dwordx4 s[4:7], s[0:1], 0x8
	s_lshl_b64 s[0:1], s[10:11], 2
	s_waitcnt lgkmcnt(0)
	s_add_u32 s0, s12, s0
	s_addc_u32 s1, s13, s1
	s_add_u32 s2, s4, s2
	s_addc_u32 s3, s5, s3
	s_load_dwordx2 s[2:3], s[2:3], 0x0
	v_mad_u64_u32 v[2:3], s[4:5], s14, v0, 0
	s_lshl_b64 s[4:5], s[6:7], 2
	v_mov_b32_e32 v4, v3
	s_waitcnt lgkmcnt(0)
	s_add_u32 s2, s2, s4
	s_addc_u32 s3, s3, s5
	v_mad_u64_u32 v[4:5], s[4:5], s16, v0, v[4:5]
	v_mov_b32_e32 v3, v4
	v_lshl_add_u64 v[2:3], v[2:3], 2, s[2:3]
	flat_load_dword v5, v[2:3]
	v_mad_u64_u32 v[2:3], s[2:3], s15, v0, 0
	v_mov_b32_e32 v4, v3
	s_waitcnt vmcnt(0) lgkmcnt(0)
	v_mad_u64_u32 v[0:1], s[2:3], s17, v0, v[4:5]
	v_mov_b32_e32 v3, v0
	v_lshl_add_u64 v[0:1], v[2:3], 2, s[0:1]
	flat_store_dword v[0:1], v5
.LBB15_2:
	s_endpgm
	.section	.rodata,"a",@progbits
	.p2align	6, 0x0
	.amdhsa_kernel _ZL19rocblas_copy_kernelIiLi256EPKPfS2_EviT1_lT_lT2_lS4_li
		.amdhsa_group_segment_fixed_size 0
		.amdhsa_private_segment_fixed_size 0
		.amdhsa_kernarg_size 76
		.amdhsa_user_sgpr_count 2
		.amdhsa_user_sgpr_dispatch_ptr 0
		.amdhsa_user_sgpr_queue_ptr 0
		.amdhsa_user_sgpr_kernarg_segment_ptr 1
		.amdhsa_user_sgpr_dispatch_id 0
		.amdhsa_user_sgpr_kernarg_preload_length 0
		.amdhsa_user_sgpr_kernarg_preload_offset 0
		.amdhsa_user_sgpr_private_segment_size 0
		.amdhsa_uses_dynamic_stack 0
		.amdhsa_enable_private_segment 0
		.amdhsa_system_sgpr_workgroup_id_x 1
		.amdhsa_system_sgpr_workgroup_id_y 0
		.amdhsa_system_sgpr_workgroup_id_z 1
		.amdhsa_system_sgpr_workgroup_info 0
		.amdhsa_system_vgpr_workitem_id 0
		.amdhsa_next_free_vgpr 6
		.amdhsa_next_free_sgpr 18
		.amdhsa_accum_offset 8
		.amdhsa_reserve_vcc 1
		.amdhsa_float_round_mode_32 0
		.amdhsa_float_round_mode_16_64 0
		.amdhsa_float_denorm_mode_32 3
		.amdhsa_float_denorm_mode_16_64 3
		.amdhsa_dx10_clamp 1
		.amdhsa_ieee_mode 1
		.amdhsa_fp16_overflow 0
		.amdhsa_tg_split 0
		.amdhsa_exception_fp_ieee_invalid_op 0
		.amdhsa_exception_fp_denorm_src 0
		.amdhsa_exception_fp_ieee_div_zero 0
		.amdhsa_exception_fp_ieee_overflow 0
		.amdhsa_exception_fp_ieee_underflow 0
		.amdhsa_exception_fp_ieee_inexact 0
		.amdhsa_exception_int_div_zero 0
	.end_amdhsa_kernel
	.section	.text._ZL19rocblas_copy_kernelIiLi256EPKPfS2_EviT1_lT_lT2_lS4_li,"axG",@progbits,_ZL19rocblas_copy_kernelIiLi256EPKPfS2_EviT1_lT_lT2_lS4_li,comdat
.Lfunc_end15:
	.size	_ZL19rocblas_copy_kernelIiLi256EPKPfS2_EviT1_lT_lT2_lS4_li, .Lfunc_end15-_ZL19rocblas_copy_kernelIiLi256EPKPfS2_EviT1_lT_lT2_lS4_li
                                        ; -- End function
	.set _ZL19rocblas_copy_kernelIiLi256EPKPfS2_EviT1_lT_lT2_lS4_li.num_vgpr, 6
	.set _ZL19rocblas_copy_kernelIiLi256EPKPfS2_EviT1_lT_lT2_lS4_li.num_agpr, 0
	.set _ZL19rocblas_copy_kernelIiLi256EPKPfS2_EviT1_lT_lT2_lS4_li.numbered_sgpr, 18
	.set _ZL19rocblas_copy_kernelIiLi256EPKPfS2_EviT1_lT_lT2_lS4_li.num_named_barrier, 0
	.set _ZL19rocblas_copy_kernelIiLi256EPKPfS2_EviT1_lT_lT2_lS4_li.private_seg_size, 0
	.set _ZL19rocblas_copy_kernelIiLi256EPKPfS2_EviT1_lT_lT2_lS4_li.uses_vcc, 1
	.set _ZL19rocblas_copy_kernelIiLi256EPKPfS2_EviT1_lT_lT2_lS4_li.uses_flat_scratch, 0
	.set _ZL19rocblas_copy_kernelIiLi256EPKPfS2_EviT1_lT_lT2_lS4_li.has_dyn_sized_stack, 0
	.set _ZL19rocblas_copy_kernelIiLi256EPKPfS2_EviT1_lT_lT2_lS4_li.has_recursion, 0
	.set _ZL19rocblas_copy_kernelIiLi256EPKPfS2_EviT1_lT_lT2_lS4_li.has_indirect_call, 0
	.section	.AMDGPU.csdata,"",@progbits
; Kernel info:
; codeLenInByte = 248
; TotalNumSgprs: 24
; NumVgprs: 6
; NumAgprs: 0
; TotalNumVgprs: 6
; ScratchSize: 0
; MemoryBound: 0
; FloatMode: 240
; IeeeMode: 1
; LDSByteSize: 0 bytes/workgroup (compile time only)
; SGPRBlocks: 2
; VGPRBlocks: 0
; NumSGPRsForWavesPerEU: 24
; NumVGPRsForWavesPerEU: 6
; AccumOffset: 8
; Occupancy: 8
; WaveLimiterHint : 1
; COMPUTE_PGM_RSRC2:SCRATCH_EN: 0
; COMPUTE_PGM_RSRC2:USER_SGPR: 2
; COMPUTE_PGM_RSRC2:TRAP_HANDLER: 0
; COMPUTE_PGM_RSRC2:TGID_X_EN: 1
; COMPUTE_PGM_RSRC2:TGID_Y_EN: 0
; COMPUTE_PGM_RSRC2:TGID_Z_EN: 1
; COMPUTE_PGM_RSRC2:TIDIG_COMP_CNT: 0
; COMPUTE_PGM_RSRC3_GFX90A:ACCUM_OFFSET: 1
; COMPUTE_PGM_RSRC3_GFX90A:TG_SPLIT: 0
	.section	.text._ZL20rocblas_tbmvx_kernelILi64ELi16EPKPKfPKPfEv18rocblas_operation_bbiiT1_lllS8_T2_llli,"axG",@progbits,_ZL20rocblas_tbmvx_kernelILi64ELi16EPKPKfPKPfEv18rocblas_operation_bbiiT1_lllS8_T2_llli,comdat
	.globl	_ZL20rocblas_tbmvx_kernelILi64ELi16EPKPKfPKPfEv18rocblas_operation_bbiiT1_lllS8_T2_llli ; -- Begin function _ZL20rocblas_tbmvx_kernelILi64ELi16EPKPKfPKPfEv18rocblas_operation_bbiiT1_lllS8_T2_llli
	.p2align	8
	.type	_ZL20rocblas_tbmvx_kernelILi64ELi16EPKPKfPKPfEv18rocblas_operation_bbiiT1_lllS8_T2_llli,@function
_ZL20rocblas_tbmvx_kernelILi64ELi16EPKPKfPKPfEv18rocblas_operation_bbiiT1_lllS8_T2_llli: ; @_ZL20rocblas_tbmvx_kernelILi64ELi16EPKPKfPKPfEv18rocblas_operation_bbiiT1_lllS8_T2_llli
; %bb.0:
	s_load_dwordx2 s[4:5], s[0:1], 0x6c
	s_mov_b32 s26, s3
	s_waitcnt lgkmcnt(0)
	s_lshr_b32 s6, s4, 16
	s_and_b32 s3, s4, 0xffff
	s_and_b32 s5, s5, 0xffff
	s_mul_i32 s4, s6, s3
	s_mul_i32 s4, s4, s5
	s_cmpk_lg_i32 s4, 0x400
	s_cbranch_scc1 .LBB16_60
; %bb.1:
	s_load_dwordx2 s[28:29], s[0:1], 0x0
	s_load_dwordx4 s[12:15], s[0:1], 0x4
	s_load_dwordx4 s[16:19], s[0:1], 0x10
	s_load_dwordx2 s[20:21], s[0:1], 0x20
	s_load_dwordx8 s[4:11], s[0:1], 0x30
	s_waitcnt lgkmcnt(0)
	s_bitcmp1_b32 s29, 0
	s_cselect_b64 s[22:23], -1, 0
	s_bitcmp1_b32 s12, 8
	s_mov_b32 s27, 0
	s_cselect_b64 s[24:25], -1, 0
	s_lshl_b64 s[26:27], s[26:27], 3
	s_add_u32 s16, s16, s26
	s_addc_u32 s17, s17, s27
	s_add_u32 s4, s4, s26
	s_addc_u32 s5, s5, s27
	;; [unrolled: 2-line block ×3, first 2 shown]
	s_load_dwordx2 s[16:17], s[16:17], 0x0
	v_and_b32_e32 v1, 0x3ff, v0
	s_load_dwordx2 s[4:5], s[4:5], 0x0
	v_bfe_u32 v0, v0, 10, 10
	s_load_dwordx2 s[6:7], s[6:7], 0x0
	v_mad_u32_u24 v9, v0, s3, v1
	v_and_b32_e32 v15, 63, v9
	s_lshl_b32 s12, s2, 6
	s_mov_b64 s[0:1], -1
	v_lshrrev_b32_e32 v0, 6, v9
	s_cmpk_lg_i32 s28, 0x6f
	v_or_b32_e32 v2, s12, v15
	s_cbranch_scc0 .LBB16_32
; %bb.2:
	v_mov_b32_e32 v1, 0
	v_cmp_gt_i64_e32 vcc, s[20:21], v[0:1]
	v_cmp_ge_i32_e64 s[0:1], s14, v0
	s_and_b64 s[0:1], s[0:1], vcc
	s_and_saveexec_b64 s[26:27], s[0:1]
	s_cbranch_execz .LBB16_31
; %bb.3:
	s_xor_b64 s[28:29], s[22:23], -1
	s_xor_b64 s[30:31], s[24:25], -1
	s_lshl_b64 s[2:3], s[18:19], 2
	v_ashrrev_i32_e32 v3, 31, v2
	s_waitcnt lgkmcnt(0)
	s_add_u32 s34, s16, s2
	v_mul_lo_u32 v6, s21, v2
	v_mul_lo_u32 v7, s20, v3
	v_mad_u64_u32 v[4:5], s[36:37], s20, v2, 0
	v_add_u32_e32 v8, s12, v15
	s_addc_u32 s35, s17, s3
	v_add3_u32 v5, v5, v7, v6
	v_ashrrev_i32_e32 v10, 31, v8
	v_lshl_add_u64 v[4:5], v[4:5], 2, s[34:35]
	v_mul_lo_u32 v12, s20, v10
	v_mul_lo_u32 v13, s21, v8
	v_mad_u64_u32 v[10:11], s[34:35], s20, v8, 0
	v_add3_u32 v11, v11, v12, v13
	v_lshl_add_u64 v[12:13], v[10:11], 2, s[2:3]
	v_lshlrev_b32_e32 v10, 2, v0
	v_mov_b32_e32 v11, 0
	v_lshl_add_u64 v[12:13], v[12:13], 0, v[10:11]
	v_cmp_gt_i32_e64 s[0:1], s13, v2
	v_xad_u32 v18, v2, -1, s13
	v_lshl_add_u64 v[6:7], v[2:3], 2, s[4:5]
	v_sub_u32_e32 v3, s14, v2
	v_lshl_add_u64 v[12:13], s[16:17], 0, v[12:13]
	v_subrev_u32_e32 v14, s14, v8
	s_mov_b64 s[34:35], 0
	v_mov_b64_e32 v[16:17], v[0:1]
	v_mov_b32_e32 v1, 0
	s_branch .LBB16_9
.LBB16_4:                               ;   in Loop: Header=BB16_9 Depth=1
	v_mov_b32_e32 v1, v10
.LBB16_5:                               ;   in Loop: Header=BB16_9 Depth=1
	s_or_b64 exec, exec, s[38:39]
.LBB16_6:                               ;   in Loop: Header=BB16_9 Depth=1
	s_or_b64 exec, exec, s[2:3]
	v_mov_b32_e32 v10, v1
.LBB16_7:                               ;   in Loop: Header=BB16_9 Depth=1
	v_mov_b32_e32 v1, v10
.LBB16_8:                               ;   in Loop: Header=BB16_9 Depth=1
	s_or_b64 exec, exec, s[36:37]
	v_lshl_add_u64 v[16:17], v[16:17], 0, 16
	v_mov_b32_e32 v10, v16
	v_cmp_le_u64_e32 vcc, s[20:21], v[10:11]
	v_cmp_lt_i32_e64 s[2:3], s14, v16
	s_or_b64 s[2:3], s[2:3], vcc
	s_and_b64 s[2:3], exec, s[2:3]
	s_or_b64 s[34:35], s[2:3], s[34:35]
	v_lshl_add_u64 v[12:13], v[12:13], 0, 64
	s_andn2_b64 exec, exec, s[34:35]
	s_cbranch_execz .LBB16_30
.LBB16_9:                               ; =>This Inner Loop Header: Depth=1
	s_and_saveexec_b64 s[36:37], s[0:1]
	s_cbranch_execz .LBB16_8
; %bb.10:                               ;   in Loop: Header=BB16_9 Depth=1
	s_mov_b64 s[2:3], -1
	s_and_b64 vcc, exec, s[28:29]
                                        ; implicit-def: $vgpr10
	s_cbranch_vccz .LBB16_21
; %bb.11:                               ;   in Loop: Header=BB16_9 Depth=1
	v_cmp_lt_i32_e32 vcc, v18, v16
	v_cmp_eq_u64_e64 s[2:3], 0, v[16:17]
	s_or_b64 s[2:3], s[2:3], vcc
                                        ; implicit-def: $vgpr10
	s_and_saveexec_b64 s[38:39], s[2:3]
	s_xor_b64 s[2:3], exec, s[38:39]
	s_cbranch_execz .LBB16_18
; %bb.12:                               ;   in Loop: Header=BB16_9 Depth=1
	v_cmp_eq_u64_e32 vcc, 0, v[16:17]
	v_mov_b32_e32 v10, v1
	s_and_saveexec_b64 s[38:39], vcc
	s_cbranch_execz .LBB16_17
; %bb.13:                               ;   in Loop: Header=BB16_9 Depth=1
	s_mov_b64 s[40:41], -1
	s_and_b64 vcc, exec, s[30:31]
                                        ; implicit-def: $vgpr10
	s_cbranch_vccz .LBB16_15
; %bb.14:                               ;   in Loop: Header=BB16_9 Depth=1
	flat_load_dword v10, v[4:5]
	flat_load_dword v19, v[6:7]
	s_mov_b64 s[40:41], 0
	s_waitcnt vmcnt(0) lgkmcnt(0)
	v_fma_f32 v10, v10, v19, v1
.LBB16_15:                              ;   in Loop: Header=BB16_9 Depth=1
	s_andn2_b64 vcc, exec, s[40:41]
	s_cbranch_vccnz .LBB16_17
; %bb.16:                               ;   in Loop: Header=BB16_9 Depth=1
	flat_load_dword v10, v[6:7]
	s_waitcnt vmcnt(0) lgkmcnt(0)
	v_add_f32_e32 v10, v1, v10
.LBB16_17:                              ;   in Loop: Header=BB16_9 Depth=1
	s_or_b64 exec, exec, s[38:39]
.LBB16_18:                              ;   in Loop: Header=BB16_9 Depth=1
	s_andn2_saveexec_b64 s[2:3], s[2:3]
	s_cbranch_execz .LBB16_20
; %bb.19:                               ;   in Loop: Header=BB16_9 Depth=1
	v_add_u32_e32 v20, v8, v16
	v_ashrrev_i32_e32 v21, 31, v20
	v_lshl_add_u64 v[20:21], v[20:21], 2, s[4:5]
	flat_load_dword v10, v[12:13]
	flat_load_dword v19, v[20:21]
	s_waitcnt vmcnt(0) lgkmcnt(0)
	v_fma_f32 v10, v10, v19, v1
.LBB16_20:                              ;   in Loop: Header=BB16_9 Depth=1
	s_or_b64 exec, exec, s[2:3]
	s_mov_b64 s[2:3], 0
.LBB16_21:                              ;   in Loop: Header=BB16_9 Depth=1
	s_andn2_b64 vcc, exec, s[2:3]
	s_cbranch_vccnz .LBB16_7
; %bb.22:                               ;   in Loop: Header=BB16_9 Depth=1
	v_cmp_gt_i32_e32 vcc, s14, v16
	v_cmp_le_i32_e64 s[2:3], v3, v16
	s_and_b64 s[2:3], vcc, s[2:3]
	s_and_saveexec_b64 s[38:39], s[2:3]
	s_xor_b64 s[2:3], exec, s[38:39]
	s_cbranch_execz .LBB16_24
; %bb.23:                               ;   in Loop: Header=BB16_9 Depth=1
	v_add_u32_e32 v10, v14, v16
	v_lshl_add_u64 v[20:21], v[10:11], 2, s[4:5]
	flat_load_dword v19, v[12:13]
	flat_load_dword v10, v[20:21]
	s_waitcnt vmcnt(0) lgkmcnt(0)
	v_fmac_f32_e32 v1, v19, v10
.LBB16_24:                              ;   in Loop: Header=BB16_9 Depth=1
	s_andn2_saveexec_b64 s[2:3], s[2:3]
	s_cbranch_execz .LBB16_6
; %bb.25:                               ;   in Loop: Header=BB16_9 Depth=1
	v_cmp_eq_u32_e32 vcc, s14, v16
	s_and_saveexec_b64 s[38:39], vcc
	s_cbranch_execz .LBB16_5
; %bb.26:                               ;   in Loop: Header=BB16_9 Depth=1
	s_mov_b64 s[40:41], -1
	s_and_b64 vcc, exec, s[30:31]
                                        ; implicit-def: $vgpr10
	s_cbranch_vccz .LBB16_28
; %bb.27:                               ;   in Loop: Header=BB16_9 Depth=1
	flat_load_dword v10, v[12:13]
	flat_load_dword v19, v[6:7]
	s_mov_b64 s[40:41], 0
	s_waitcnt vmcnt(0) lgkmcnt(0)
	v_fma_f32 v10, v10, v19, v1
.LBB16_28:                              ;   in Loop: Header=BB16_9 Depth=1
	s_andn2_b64 vcc, exec, s[40:41]
	s_cbranch_vccnz .LBB16_4
; %bb.29:                               ;   in Loop: Header=BB16_9 Depth=1
	flat_load_dword v10, v[6:7]
	s_waitcnt vmcnt(0) lgkmcnt(0)
	v_add_f32_e32 v10, v1, v10
	s_branch .LBB16_4
.LBB16_30:
	s_or_b64 exec, exec, s[34:35]
.LBB16_31:
	s_or_b64 exec, exec, s[26:27]
	s_mov_b64 s[0:1], 0
.LBB16_32:
	s_andn2_b64 vcc, exec, s[0:1]
	s_cbranch_vccnz .LBB16_58
; %bb.33:
	v_cmp_gt_i32_e32 vcc, s13, v0
	v_mov_b32_e32 v1, 0
	s_and_saveexec_b64 s[26:27], vcc
	s_cbranch_execz .LBB16_57
; %bb.34:
	s_and_b64 s[0:1], s[22:23], exec
	s_cselect_b32 s30, s14, 0
	s_and_b64 s[2:3], s[22:23], s[24:25]
	v_cmp_gt_i32_e64 s[0:1], s13, v2
	s_xor_b64 s[28:29], s[2:3], -1
	s_xor_b64 s[2:3], s[24:25], -1
	v_lshlrev_b32_e32 v2, 2, v0
	v_mov_b32_e32 v3, 0
	s_cmp_lg_u32 s14, 0
	s_waitcnt lgkmcnt(0)
	v_lshl_add_u64 v[4:5], s[4:5], 0, v[2:3]
	v_mad_u64_u32 v[6:7], s[4:5], s20, v0, 0
	s_cselect_b64 s[24:25], -1, 0
	v_mov_b32_e32 v2, v7
	s_and_b64 s[22:23], s[22:23], s[24:25]
	v_mad_u64_u32 v[10:11], s[4:5], s21, v0, v[2:3]
	s_nor_b64 s[2:3], s[22:23], s[2:3]
	s_ashr_i32 s15, s14, 31
	s_lshl_b64 s[4:5], s[18:19], 2
	s_add_u32 s4, s16, s4
	s_addc_u32 s5, s17, s5
	s_add_i32 s30, s30, s12
	v_add_u32_e32 v1, s30, v15
	v_mov_b32_e32 v7, v10
	v_sub_u32_e32 v2, v1, v0
	v_cndmask_b32_e64 v1, 0, 1, s[2:3]
	v_lshl_add_u64 v[6:7], v[6:7], 2, s[4:5]
	s_lshl_b64 s[16:17], s[20:21], 6
	s_lshl_b64 s[20:21], s[14:15], 2
	s_mov_b64 s[18:19], 0
	v_cmp_ne_u32_e64 s[2:3], 1, v1
	v_mov_b32_e32 v1, v3
	s_branch .LBB16_37
.LBB16_35:                              ;   in Loop: Header=BB16_37 Depth=1
	s_or_b64 exec, exec, s[4:5]
.LBB16_36:                              ;   in Loop: Header=BB16_37 Depth=1
	s_or_b64 exec, exec, s[22:23]
	v_add_u32_e32 v0, 16, v0
	v_cmp_le_i32_e32 vcc, s13, v0
	v_lshl_add_u64 v[4:5], v[4:5], 0, 64
	v_lshl_add_u64 v[6:7], v[6:7], 0, s[16:17]
	s_or_b64 s[18:19], vcc, s[18:19]
	v_add_u32_e32 v2, -16, v2
	s_andn2_b64 exec, exec, s[18:19]
	s_cbranch_execz .LBB16_56
.LBB16_37:                              ; =>This Inner Loop Header: Depth=1
	s_and_saveexec_b64 s[22:23], s[0:1]
	s_cbranch_execz .LBB16_36
; %bb.38:                               ;   in Loop: Header=BB16_37 Depth=1
	v_cmp_le_i32_e32 vcc, s14, v2
	v_cmp_gt_i32_e64 s[4:5], 1, v2
	s_or_b64 s[4:5], vcc, s[4:5]
	s_and_saveexec_b64 s[24:25], s[4:5]
	s_xor_b64 s[4:5], exec, s[24:25]
	s_cbranch_execz .LBB16_54
; %bb.39:                               ;   in Loop: Header=BB16_37 Depth=1
	v_cmp_ne_u32_e32 vcc, 0, v2
	s_and_saveexec_b64 s[24:25], vcc
	s_xor_b64 s[24:25], exec, s[24:25]
	s_cbranch_execz .LBB16_47
; %bb.40:                               ;   in Loop: Header=BB16_37 Depth=1
	v_cmp_eq_u32_e32 vcc, s14, v2
	s_and_saveexec_b64 s[30:31], vcc
	s_cbranch_execz .LBB16_46
; %bb.41:                               ;   in Loop: Header=BB16_37 Depth=1
	s_mov_b64 s[34:35], -1
	s_and_b64 vcc, exec, s[28:29]
                                        ; implicit-def: $vgpr8
	s_cbranch_vccz .LBB16_43
; %bb.42:                               ;   in Loop: Header=BB16_37 Depth=1
	v_lshl_add_u64 v[10:11], v[6:7], 0, s[20:21]
	flat_load_dword v8, v[4:5]
	flat_load_dword v12, v[10:11]
	s_mov_b64 s[34:35], 0
	s_waitcnt vmcnt(0) lgkmcnt(0)
	v_fma_f32 v8, v12, v8, v1
.LBB16_43:                              ;   in Loop: Header=BB16_37 Depth=1
	s_andn2_b64 vcc, exec, s[34:35]
	s_cbranch_vccnz .LBB16_45
; %bb.44:                               ;   in Loop: Header=BB16_37 Depth=1
	flat_load_dword v8, v[4:5]
	s_waitcnt vmcnt(0) lgkmcnt(0)
	v_add_f32_e32 v8, v1, v8
.LBB16_45:                              ;   in Loop: Header=BB16_37 Depth=1
	v_mov_b32_e32 v1, v8
.LBB16_46:                              ;   in Loop: Header=BB16_37 Depth=1
	s_or_b64 exec, exec, s[30:31]
.LBB16_47:                              ;   in Loop: Header=BB16_37 Depth=1
	s_andn2_saveexec_b64 s[24:25], s[24:25]
	s_cbranch_execz .LBB16_53
; %bb.48:                               ;   in Loop: Header=BB16_37 Depth=1
	s_and_b64 vcc, exec, s[2:3]
	s_mov_b64 s[30:31], -1
                                        ; implicit-def: $vgpr8
	s_cbranch_vccnz .LBB16_50
; %bb.49:                               ;   in Loop: Header=BB16_37 Depth=1
	flat_load_dword v8, v[4:5]
	s_mov_b64 s[30:31], 0
	s_waitcnt vmcnt(0) lgkmcnt(0)
	v_add_f32_e32 v8, v1, v8
.LBB16_50:                              ;   in Loop: Header=BB16_37 Depth=1
	s_andn2_b64 vcc, exec, s[30:31]
	s_cbranch_vccnz .LBB16_52
; %bb.51:                               ;   in Loop: Header=BB16_37 Depth=1
	flat_load_dword v8, v[6:7]
	flat_load_dword v10, v[4:5]
	s_waitcnt vmcnt(0) lgkmcnt(0)
	v_fmac_f32_e32 v1, v8, v10
	v_mov_b32_e32 v8, v1
.LBB16_52:                              ;   in Loop: Header=BB16_37 Depth=1
	v_mov_b32_e32 v1, v8
.LBB16_53:                              ;   in Loop: Header=BB16_37 Depth=1
	s_or_b64 exec, exec, s[24:25]
.LBB16_54:                              ;   in Loop: Header=BB16_37 Depth=1
	s_andn2_saveexec_b64 s[4:5], s[4:5]
	s_cbranch_execz .LBB16_35
; %bb.55:                               ;   in Loop: Header=BB16_37 Depth=1
	v_lshl_add_u64 v[10:11], v[2:3], 2, v[6:7]
	flat_load_dword v8, v[10:11]
	flat_load_dword v12, v[4:5]
	s_waitcnt vmcnt(0) lgkmcnt(0)
	v_fmac_f32_e32 v1, v8, v12
	s_branch .LBB16_35
.LBB16_56:
	s_or_b64 exec, exec, s[18:19]
.LBB16_57:
	s_or_b64 exec, exec, s[26:27]
.LBB16_58:
	v_lshlrev_b32_e32 v0, 2, v9
	ds_write_b32 v0, v1
	v_add_u32_e32 v1, s12, v9
	v_cmp_gt_u32_e32 vcc, 64, v9
	v_cmp_gt_i32_e64 s[0:1], s13, v1
	s_and_b64 s[0:1], vcc, s[0:1]
	s_waitcnt lgkmcnt(0)
	s_barrier
	s_and_saveexec_b64 s[2:3], s[0:1]
	s_cbranch_execz .LBB16_60
; %bb.59:
	ds_read2st64_b32 v[2:3], v0 offset1:1
	ds_read2st64_b32 v[4:5], v0 offset0:2 offset1:3
	ds_read2st64_b32 v[6:7], v0 offset0:4 offset1:5
	;; [unrolled: 1-line block ×3, first 2 shown]
	s_lshl_b64 s[0:1], s[8:9], 2
	s_add_u32 s0, s6, s0
	s_waitcnt lgkmcnt(3)
	v_add_f32_e32 v2, v2, v3
	s_waitcnt lgkmcnt(2)
	v_add_f32_e32 v2, v4, v2
	v_add_f32_e32 v2, v5, v2
	s_waitcnt lgkmcnt(1)
	v_add_f32_e32 v2, v6, v2
	;; [unrolled: 3-line block ×3, first 2 shown]
	ds_read2st64_b32 v[2:3], v0 offset0:8 offset1:9
	v_add_f32_e32 v10, v9, v4
	ds_read2st64_b32 v[4:5], v0 offset0:10 offset1:11
	ds_read2st64_b32 v[6:7], v0 offset0:12 offset1:13
	;; [unrolled: 1-line block ×3, first 2 shown]
	s_addc_u32 s1, s7, s1
	s_waitcnt lgkmcnt(3)
	v_add_f32_e32 v2, v2, v10
	v_add_f32_e32 v2, v3, v2
	s_waitcnt lgkmcnt(2)
	v_add_f32_e32 v2, v4, v2
	v_add_f32_e32 v2, v5, v2
	;; [unrolled: 3-line block ×4, first 2 shown]
	ds_write_b32 v0, v2
	v_ashrrev_i32_e32 v0, 31, v1
	v_mul_lo_u32 v3, s11, v1
	v_mul_lo_u32 v4, s10, v0
	v_mad_u64_u32 v[0:1], s[2:3], s10, v1, 0
	v_add3_u32 v1, v1, v4, v3
	v_lshl_add_u64 v[0:1], v[0:1], 2, s[0:1]
	flat_store_dword v[0:1], v2
.LBB16_60:
	s_endpgm
	.section	.rodata,"a",@progbits
	.p2align	6, 0x0
	.amdhsa_kernel _ZL20rocblas_tbmvx_kernelILi64ELi16EPKPKfPKPfEv18rocblas_operation_bbiiT1_lllS8_T2_llli
		.amdhsa_group_segment_fixed_size 4096
		.amdhsa_private_segment_fixed_size 0
		.amdhsa_kernarg_size 352
		.amdhsa_user_sgpr_count 2
		.amdhsa_user_sgpr_dispatch_ptr 0
		.amdhsa_user_sgpr_queue_ptr 0
		.amdhsa_user_sgpr_kernarg_segment_ptr 1
		.amdhsa_user_sgpr_dispatch_id 0
		.amdhsa_user_sgpr_kernarg_preload_length 0
		.amdhsa_user_sgpr_kernarg_preload_offset 0
		.amdhsa_user_sgpr_private_segment_size 0
		.amdhsa_uses_dynamic_stack 0
		.amdhsa_enable_private_segment 0
		.amdhsa_system_sgpr_workgroup_id_x 1
		.amdhsa_system_sgpr_workgroup_id_y 0
		.amdhsa_system_sgpr_workgroup_id_z 1
		.amdhsa_system_sgpr_workgroup_info 0
		.amdhsa_system_vgpr_workitem_id 1
		.amdhsa_next_free_vgpr 22
		.amdhsa_next_free_sgpr 42
		.amdhsa_accum_offset 24
		.amdhsa_reserve_vcc 1
		.amdhsa_float_round_mode_32 0
		.amdhsa_float_round_mode_16_64 0
		.amdhsa_float_denorm_mode_32 3
		.amdhsa_float_denorm_mode_16_64 3
		.amdhsa_dx10_clamp 1
		.amdhsa_ieee_mode 1
		.amdhsa_fp16_overflow 0
		.amdhsa_tg_split 0
		.amdhsa_exception_fp_ieee_invalid_op 0
		.amdhsa_exception_fp_denorm_src 0
		.amdhsa_exception_fp_ieee_div_zero 0
		.amdhsa_exception_fp_ieee_overflow 0
		.amdhsa_exception_fp_ieee_underflow 0
		.amdhsa_exception_fp_ieee_inexact 0
		.amdhsa_exception_int_div_zero 0
	.end_amdhsa_kernel
	.section	.text._ZL20rocblas_tbmvx_kernelILi64ELi16EPKPKfPKPfEv18rocblas_operation_bbiiT1_lllS8_T2_llli,"axG",@progbits,_ZL20rocblas_tbmvx_kernelILi64ELi16EPKPKfPKPfEv18rocblas_operation_bbiiT1_lllS8_T2_llli,comdat
.Lfunc_end16:
	.size	_ZL20rocblas_tbmvx_kernelILi64ELi16EPKPKfPKPfEv18rocblas_operation_bbiiT1_lllS8_T2_llli, .Lfunc_end16-_ZL20rocblas_tbmvx_kernelILi64ELi16EPKPKfPKPfEv18rocblas_operation_bbiiT1_lllS8_T2_llli
                                        ; -- End function
	.set _ZL20rocblas_tbmvx_kernelILi64ELi16EPKPKfPKPfEv18rocblas_operation_bbiiT1_lllS8_T2_llli.num_vgpr, 22
	.set _ZL20rocblas_tbmvx_kernelILi64ELi16EPKPKfPKPfEv18rocblas_operation_bbiiT1_lllS8_T2_llli.num_agpr, 0
	.set _ZL20rocblas_tbmvx_kernelILi64ELi16EPKPKfPKPfEv18rocblas_operation_bbiiT1_lllS8_T2_llli.numbered_sgpr, 42
	.set _ZL20rocblas_tbmvx_kernelILi64ELi16EPKPKfPKPfEv18rocblas_operation_bbiiT1_lllS8_T2_llli.num_named_barrier, 0
	.set _ZL20rocblas_tbmvx_kernelILi64ELi16EPKPKfPKPfEv18rocblas_operation_bbiiT1_lllS8_T2_llli.private_seg_size, 0
	.set _ZL20rocblas_tbmvx_kernelILi64ELi16EPKPKfPKPfEv18rocblas_operation_bbiiT1_lllS8_T2_llli.uses_vcc, 1
	.set _ZL20rocblas_tbmvx_kernelILi64ELi16EPKPKfPKPfEv18rocblas_operation_bbiiT1_lllS8_T2_llli.uses_flat_scratch, 0
	.set _ZL20rocblas_tbmvx_kernelILi64ELi16EPKPKfPKPfEv18rocblas_operation_bbiiT1_lllS8_T2_llli.has_dyn_sized_stack, 0
	.set _ZL20rocblas_tbmvx_kernelILi64ELi16EPKPKfPKPfEv18rocblas_operation_bbiiT1_lllS8_T2_llli.has_recursion, 0
	.set _ZL20rocblas_tbmvx_kernelILi64ELi16EPKPKfPKPfEv18rocblas_operation_bbiiT1_lllS8_T2_llli.has_indirect_call, 0
	.section	.AMDGPU.csdata,"",@progbits
; Kernel info:
; codeLenInByte = 1680
; TotalNumSgprs: 48
; NumVgprs: 22
; NumAgprs: 0
; TotalNumVgprs: 22
; ScratchSize: 0
; MemoryBound: 0
; FloatMode: 240
; IeeeMode: 1
; LDSByteSize: 4096 bytes/workgroup (compile time only)
; SGPRBlocks: 5
; VGPRBlocks: 2
; NumSGPRsForWavesPerEU: 48
; NumVGPRsForWavesPerEU: 22
; AccumOffset: 24
; Occupancy: 8
; WaveLimiterHint : 1
; COMPUTE_PGM_RSRC2:SCRATCH_EN: 0
; COMPUTE_PGM_RSRC2:USER_SGPR: 2
; COMPUTE_PGM_RSRC2:TRAP_HANDLER: 0
; COMPUTE_PGM_RSRC2:TGID_X_EN: 1
; COMPUTE_PGM_RSRC2:TGID_Y_EN: 0
; COMPUTE_PGM_RSRC2:TGID_Z_EN: 1
; COMPUTE_PGM_RSRC2:TIDIG_COMP_CNT: 1
; COMPUTE_PGM_RSRC3_GFX90A:ACCUM_OFFSET: 5
; COMPUTE_PGM_RSRC3_GFX90A:TG_SPLIT: 0
	.section	.text._ZL19rocblas_copy_kernelIlLi256EPKPdS2_EviT1_lT_lT2_lS4_li,"axG",@progbits,_ZL19rocblas_copy_kernelIlLi256EPKPdS2_EviT1_lT_lT2_lS4_li,comdat
	.globl	_ZL19rocblas_copy_kernelIlLi256EPKPdS2_EviT1_lT_lT2_lS4_li ; -- Begin function _ZL19rocblas_copy_kernelIlLi256EPKPdS2_EviT1_lT_lT2_lS4_li
	.p2align	8
	.type	_ZL19rocblas_copy_kernelIlLi256EPKPdS2_EviT1_lT_lT2_lS4_li,@function
_ZL19rocblas_copy_kernelIlLi256EPKPdS2_EviT1_lT_lT2_lS4_li: ; @_ZL19rocblas_copy_kernelIlLi256EPKPdS2_EviT1_lT_lT2_lS4_li
; %bb.0:
	s_load_dword s6, s[0:1], 0x0
	v_lshl_or_b32 v0, s2, 8, v0
	v_mov_b32_e32 v1, 0
	s_mov_b32 s4, s3
	s_waitcnt lgkmcnt(0)
	s_ashr_i32 s7, s6, 31
	v_cmp_gt_i64_e32 vcc, s[6:7], v[0:1]
	s_and_saveexec_b64 s[2:3], vcc
	s_cbranch_execz .LBB17_2
; %bb.1:
	s_load_dwordx4 s[8:11], s[0:1], 0x28
	s_load_dwordx2 s[2:3], s[0:1], 0x18
	s_load_dwordx2 s[12:13], s[0:1], 0x38
	s_mov_b32 s5, 0
	s_lshl_b64 s[14:15], s[4:5], 3
	s_waitcnt lgkmcnt(0)
	s_add_u32 s8, s8, s14
	s_addc_u32 s9, s9, s15
	s_load_dwordx2 s[16:17], s[8:9], 0x0
	s_load_dwordx4 s[4:7], s[0:1], 0x8
	v_mad_u64_u32 v[2:3], s[0:1], s2, v0, 0
	s_lshl_b64 s[0:1], s[10:11], 3
	s_waitcnt lgkmcnt(0)
	s_add_u32 s0, s16, s0
	s_addc_u32 s1, s17, s1
	s_add_u32 s4, s4, s14
	s_addc_u32 s5, s5, s15
	s_load_dwordx2 s[4:5], s[4:5], 0x0
	v_mov_b32_e32 v4, v3
	v_mad_u64_u32 v[4:5], s[2:3], s3, v0, v[4:5]
	s_lshl_b64 s[2:3], s[6:7], 3
	s_waitcnt lgkmcnt(0)
	s_add_u32 s2, s4, s2
	s_addc_u32 s3, s5, s3
	v_mov_b32_e32 v3, v4
	v_lshl_add_u64 v[2:3], v[2:3], 3, s[2:3]
	flat_load_dwordx2 v[2:3], v[2:3]
	v_mad_u64_u32 v[4:5], s[2:3], s12, v0, 0
	v_mov_b32_e32 v6, v5
	v_mad_u64_u32 v[0:1], s[2:3], s13, v0, v[6:7]
	v_mov_b32_e32 v5, v0
	v_lshl_add_u64 v[0:1], v[4:5], 3, s[0:1]
	s_waitcnt vmcnt(0) lgkmcnt(0)
	flat_store_dwordx2 v[0:1], v[2:3]
.LBB17_2:
	s_endpgm
	.section	.rodata,"a",@progbits
	.p2align	6, 0x0
	.amdhsa_kernel _ZL19rocblas_copy_kernelIlLi256EPKPdS2_EviT1_lT_lT2_lS4_li
		.amdhsa_group_segment_fixed_size 0
		.amdhsa_private_segment_fixed_size 0
		.amdhsa_kernarg_size 76
		.amdhsa_user_sgpr_count 2
		.amdhsa_user_sgpr_dispatch_ptr 0
		.amdhsa_user_sgpr_queue_ptr 0
		.amdhsa_user_sgpr_kernarg_segment_ptr 1
		.amdhsa_user_sgpr_dispatch_id 0
		.amdhsa_user_sgpr_kernarg_preload_length 0
		.amdhsa_user_sgpr_kernarg_preload_offset 0
		.amdhsa_user_sgpr_private_segment_size 0
		.amdhsa_uses_dynamic_stack 0
		.amdhsa_enable_private_segment 0
		.amdhsa_system_sgpr_workgroup_id_x 1
		.amdhsa_system_sgpr_workgroup_id_y 0
		.amdhsa_system_sgpr_workgroup_id_z 1
		.amdhsa_system_sgpr_workgroup_info 0
		.amdhsa_system_vgpr_workitem_id 0
		.amdhsa_next_free_vgpr 8
		.amdhsa_next_free_sgpr 18
		.amdhsa_accum_offset 8
		.amdhsa_reserve_vcc 1
		.amdhsa_float_round_mode_32 0
		.amdhsa_float_round_mode_16_64 0
		.amdhsa_float_denorm_mode_32 3
		.amdhsa_float_denorm_mode_16_64 3
		.amdhsa_dx10_clamp 1
		.amdhsa_ieee_mode 1
		.amdhsa_fp16_overflow 0
		.amdhsa_tg_split 0
		.amdhsa_exception_fp_ieee_invalid_op 0
		.amdhsa_exception_fp_denorm_src 0
		.amdhsa_exception_fp_ieee_div_zero 0
		.amdhsa_exception_fp_ieee_overflow 0
		.amdhsa_exception_fp_ieee_underflow 0
		.amdhsa_exception_fp_ieee_inexact 0
		.amdhsa_exception_int_div_zero 0
	.end_amdhsa_kernel
	.section	.text._ZL19rocblas_copy_kernelIlLi256EPKPdS2_EviT1_lT_lT2_lS4_li,"axG",@progbits,_ZL19rocblas_copy_kernelIlLi256EPKPdS2_EviT1_lT_lT2_lS4_li,comdat
.Lfunc_end17:
	.size	_ZL19rocblas_copy_kernelIlLi256EPKPdS2_EviT1_lT_lT2_lS4_li, .Lfunc_end17-_ZL19rocblas_copy_kernelIlLi256EPKPdS2_EviT1_lT_lT2_lS4_li
                                        ; -- End function
	.set _ZL19rocblas_copy_kernelIlLi256EPKPdS2_EviT1_lT_lT2_lS4_li.num_vgpr, 8
	.set _ZL19rocblas_copy_kernelIlLi256EPKPdS2_EviT1_lT_lT2_lS4_li.num_agpr, 0
	.set _ZL19rocblas_copy_kernelIlLi256EPKPdS2_EviT1_lT_lT2_lS4_li.numbered_sgpr, 18
	.set _ZL19rocblas_copy_kernelIlLi256EPKPdS2_EviT1_lT_lT2_lS4_li.num_named_barrier, 0
	.set _ZL19rocblas_copy_kernelIlLi256EPKPdS2_EviT1_lT_lT2_lS4_li.private_seg_size, 0
	.set _ZL19rocblas_copy_kernelIlLi256EPKPdS2_EviT1_lT_lT2_lS4_li.uses_vcc, 1
	.set _ZL19rocblas_copy_kernelIlLi256EPKPdS2_EviT1_lT_lT2_lS4_li.uses_flat_scratch, 0
	.set _ZL19rocblas_copy_kernelIlLi256EPKPdS2_EviT1_lT_lT2_lS4_li.has_dyn_sized_stack, 0
	.set _ZL19rocblas_copy_kernelIlLi256EPKPdS2_EviT1_lT_lT2_lS4_li.has_recursion, 0
	.set _ZL19rocblas_copy_kernelIlLi256EPKPdS2_EviT1_lT_lT2_lS4_li.has_indirect_call, 0
	.section	.AMDGPU.csdata,"",@progbits
; Kernel info:
; codeLenInByte = 240
; TotalNumSgprs: 24
; NumVgprs: 8
; NumAgprs: 0
; TotalNumVgprs: 8
; ScratchSize: 0
; MemoryBound: 0
; FloatMode: 240
; IeeeMode: 1
; LDSByteSize: 0 bytes/workgroup (compile time only)
; SGPRBlocks: 2
; VGPRBlocks: 0
; NumSGPRsForWavesPerEU: 24
; NumVGPRsForWavesPerEU: 8
; AccumOffset: 8
; Occupancy: 8
; WaveLimiterHint : 1
; COMPUTE_PGM_RSRC2:SCRATCH_EN: 0
; COMPUTE_PGM_RSRC2:USER_SGPR: 2
; COMPUTE_PGM_RSRC2:TRAP_HANDLER: 0
; COMPUTE_PGM_RSRC2:TGID_X_EN: 1
; COMPUTE_PGM_RSRC2:TGID_Y_EN: 0
; COMPUTE_PGM_RSRC2:TGID_Z_EN: 1
; COMPUTE_PGM_RSRC2:TIDIG_COMP_CNT: 0
; COMPUTE_PGM_RSRC3_GFX90A:ACCUM_OFFSET: 1
; COMPUTE_PGM_RSRC3_GFX90A:TG_SPLIT: 0
	.section	.text._ZL19rocblas_copy_kernelIiLi256EPKPdS2_EviT1_lT_lT2_lS4_li,"axG",@progbits,_ZL19rocblas_copy_kernelIiLi256EPKPdS2_EviT1_lT_lT2_lS4_li,comdat
	.globl	_ZL19rocblas_copy_kernelIiLi256EPKPdS2_EviT1_lT_lT2_lS4_li ; -- Begin function _ZL19rocblas_copy_kernelIiLi256EPKPdS2_EviT1_lT_lT2_lS4_li
	.p2align	8
	.type	_ZL19rocblas_copy_kernelIiLi256EPKPdS2_EviT1_lT_lT2_lS4_li,@function
_ZL19rocblas_copy_kernelIiLi256EPKPdS2_EviT1_lT_lT2_lS4_li: ; @_ZL19rocblas_copy_kernelIiLi256EPKPdS2_EviT1_lT_lT2_lS4_li
; %bb.0:
	s_load_dword s6, s[0:1], 0x0
	v_lshl_or_b32 v0, s2, 8, v0
	v_mov_b32_e32 v1, 0
	s_mov_b32 s4, s3
	s_waitcnt lgkmcnt(0)
	s_ashr_i32 s7, s6, 31
	v_cmp_gt_i64_e32 vcc, s[6:7], v[0:1]
	s_and_saveexec_b64 s[2:3], vcc
	s_cbranch_execz .LBB18_2
; %bb.1:
	s_load_dword s14, s[0:1], 0x18
	s_load_dword s15, s[0:1], 0x38
	s_load_dwordx4 s[8:11], s[0:1], 0x28
	s_mov_b32 s5, 0
	s_lshl_b64 s[2:3], s[4:5], 3
	s_waitcnt lgkmcnt(0)
	s_ashr_i32 s16, s14, 31
	s_ashr_i32 s17, s15, 31
	s_add_u32 s8, s8, s2
	s_addc_u32 s9, s9, s3
	s_load_dwordx2 s[12:13], s[8:9], 0x0
	s_load_dwordx4 s[4:7], s[0:1], 0x8
	s_lshl_b64 s[0:1], s[10:11], 3
	s_waitcnt lgkmcnt(0)
	s_add_u32 s0, s12, s0
	s_addc_u32 s1, s13, s1
	s_add_u32 s2, s4, s2
	s_addc_u32 s3, s5, s3
	s_load_dwordx2 s[2:3], s[2:3], 0x0
	v_mad_u64_u32 v[2:3], s[4:5], s14, v0, 0
	s_lshl_b64 s[4:5], s[6:7], 3
	v_mov_b32_e32 v4, v3
	s_waitcnt lgkmcnt(0)
	s_add_u32 s2, s2, s4
	s_addc_u32 s3, s3, s5
	v_mad_u64_u32 v[4:5], s[4:5], s16, v0, v[4:5]
	v_mov_b32_e32 v3, v4
	v_lshl_add_u64 v[2:3], v[2:3], 3, s[2:3]
	flat_load_dwordx2 v[2:3], v[2:3]
	v_mad_u64_u32 v[4:5], s[2:3], s15, v0, 0
	v_mov_b32_e32 v6, v5
	v_mad_u64_u32 v[0:1], s[2:3], s17, v0, v[6:7]
	v_mov_b32_e32 v5, v0
	v_lshl_add_u64 v[0:1], v[4:5], 3, s[0:1]
	s_waitcnt vmcnt(0) lgkmcnt(0)
	flat_store_dwordx2 v[0:1], v[2:3]
.LBB18_2:
	s_endpgm
	.section	.rodata,"a",@progbits
	.p2align	6, 0x0
	.amdhsa_kernel _ZL19rocblas_copy_kernelIiLi256EPKPdS2_EviT1_lT_lT2_lS4_li
		.amdhsa_group_segment_fixed_size 0
		.amdhsa_private_segment_fixed_size 0
		.amdhsa_kernarg_size 76
		.amdhsa_user_sgpr_count 2
		.amdhsa_user_sgpr_dispatch_ptr 0
		.amdhsa_user_sgpr_queue_ptr 0
		.amdhsa_user_sgpr_kernarg_segment_ptr 1
		.amdhsa_user_sgpr_dispatch_id 0
		.amdhsa_user_sgpr_kernarg_preload_length 0
		.amdhsa_user_sgpr_kernarg_preload_offset 0
		.amdhsa_user_sgpr_private_segment_size 0
		.amdhsa_uses_dynamic_stack 0
		.amdhsa_enable_private_segment 0
		.amdhsa_system_sgpr_workgroup_id_x 1
		.amdhsa_system_sgpr_workgroup_id_y 0
		.amdhsa_system_sgpr_workgroup_id_z 1
		.amdhsa_system_sgpr_workgroup_info 0
		.amdhsa_system_vgpr_workitem_id 0
		.amdhsa_next_free_vgpr 8
		.amdhsa_next_free_sgpr 18
		.amdhsa_accum_offset 8
		.amdhsa_reserve_vcc 1
		.amdhsa_float_round_mode_32 0
		.amdhsa_float_round_mode_16_64 0
		.amdhsa_float_denorm_mode_32 3
		.amdhsa_float_denorm_mode_16_64 3
		.amdhsa_dx10_clamp 1
		.amdhsa_ieee_mode 1
		.amdhsa_fp16_overflow 0
		.amdhsa_tg_split 0
		.amdhsa_exception_fp_ieee_invalid_op 0
		.amdhsa_exception_fp_denorm_src 0
		.amdhsa_exception_fp_ieee_div_zero 0
		.amdhsa_exception_fp_ieee_overflow 0
		.amdhsa_exception_fp_ieee_underflow 0
		.amdhsa_exception_fp_ieee_inexact 0
		.amdhsa_exception_int_div_zero 0
	.end_amdhsa_kernel
	.section	.text._ZL19rocblas_copy_kernelIiLi256EPKPdS2_EviT1_lT_lT2_lS4_li,"axG",@progbits,_ZL19rocblas_copy_kernelIiLi256EPKPdS2_EviT1_lT_lT2_lS4_li,comdat
.Lfunc_end18:
	.size	_ZL19rocblas_copy_kernelIiLi256EPKPdS2_EviT1_lT_lT2_lS4_li, .Lfunc_end18-_ZL19rocblas_copy_kernelIiLi256EPKPdS2_EviT1_lT_lT2_lS4_li
                                        ; -- End function
	.set _ZL19rocblas_copy_kernelIiLi256EPKPdS2_EviT1_lT_lT2_lS4_li.num_vgpr, 8
	.set _ZL19rocblas_copy_kernelIiLi256EPKPdS2_EviT1_lT_lT2_lS4_li.num_agpr, 0
	.set _ZL19rocblas_copy_kernelIiLi256EPKPdS2_EviT1_lT_lT2_lS4_li.numbered_sgpr, 18
	.set _ZL19rocblas_copy_kernelIiLi256EPKPdS2_EviT1_lT_lT2_lS4_li.num_named_barrier, 0
	.set _ZL19rocblas_copy_kernelIiLi256EPKPdS2_EviT1_lT_lT2_lS4_li.private_seg_size, 0
	.set _ZL19rocblas_copy_kernelIiLi256EPKPdS2_EviT1_lT_lT2_lS4_li.uses_vcc, 1
	.set _ZL19rocblas_copy_kernelIiLi256EPKPdS2_EviT1_lT_lT2_lS4_li.uses_flat_scratch, 0
	.set _ZL19rocblas_copy_kernelIiLi256EPKPdS2_EviT1_lT_lT2_lS4_li.has_dyn_sized_stack, 0
	.set _ZL19rocblas_copy_kernelIiLi256EPKPdS2_EviT1_lT_lT2_lS4_li.has_recursion, 0
	.set _ZL19rocblas_copy_kernelIiLi256EPKPdS2_EviT1_lT_lT2_lS4_li.has_indirect_call, 0
	.section	.AMDGPU.csdata,"",@progbits
; Kernel info:
; codeLenInByte = 248
; TotalNumSgprs: 24
; NumVgprs: 8
; NumAgprs: 0
; TotalNumVgprs: 8
; ScratchSize: 0
; MemoryBound: 0
; FloatMode: 240
; IeeeMode: 1
; LDSByteSize: 0 bytes/workgroup (compile time only)
; SGPRBlocks: 2
; VGPRBlocks: 0
; NumSGPRsForWavesPerEU: 24
; NumVGPRsForWavesPerEU: 8
; AccumOffset: 8
; Occupancy: 8
; WaveLimiterHint : 1
; COMPUTE_PGM_RSRC2:SCRATCH_EN: 0
; COMPUTE_PGM_RSRC2:USER_SGPR: 2
; COMPUTE_PGM_RSRC2:TRAP_HANDLER: 0
; COMPUTE_PGM_RSRC2:TGID_X_EN: 1
; COMPUTE_PGM_RSRC2:TGID_Y_EN: 0
; COMPUTE_PGM_RSRC2:TGID_Z_EN: 1
; COMPUTE_PGM_RSRC2:TIDIG_COMP_CNT: 0
; COMPUTE_PGM_RSRC3_GFX90A:ACCUM_OFFSET: 1
; COMPUTE_PGM_RSRC3_GFX90A:TG_SPLIT: 0
	.section	.text._ZL20rocblas_tbmvx_kernelILi64ELi16EPKPKdPKPdEv18rocblas_operation_bbiiT1_lllS8_T2_llli,"axG",@progbits,_ZL20rocblas_tbmvx_kernelILi64ELi16EPKPKdPKPdEv18rocblas_operation_bbiiT1_lllS8_T2_llli,comdat
	.globl	_ZL20rocblas_tbmvx_kernelILi64ELi16EPKPKdPKPdEv18rocblas_operation_bbiiT1_lllS8_T2_llli ; -- Begin function _ZL20rocblas_tbmvx_kernelILi64ELi16EPKPKdPKPdEv18rocblas_operation_bbiiT1_lllS8_T2_llli
	.p2align	8
	.type	_ZL20rocblas_tbmvx_kernelILi64ELi16EPKPKdPKPdEv18rocblas_operation_bbiiT1_lllS8_T2_llli,@function
_ZL20rocblas_tbmvx_kernelILi64ELi16EPKPKdPKPdEv18rocblas_operation_bbiiT1_lllS8_T2_llli: ; @_ZL20rocblas_tbmvx_kernelILi64ELi16EPKPKdPKPdEv18rocblas_operation_bbiiT1_lllS8_T2_llli
; %bb.0:
	s_load_dwordx2 s[4:5], s[0:1], 0x6c
	s_mov_b32 s26, s3
	s_waitcnt lgkmcnt(0)
	s_lshr_b32 s6, s4, 16
	s_and_b32 s3, s4, 0xffff
	s_and_b32 s5, s5, 0xffff
	s_mul_i32 s4, s6, s3
	s_mul_i32 s4, s4, s5
	s_cmpk_lg_i32 s4, 0x400
	s_cbranch_scc1 .LBB19_60
; %bb.1:
	s_load_dwordx2 s[28:29], s[0:1], 0x0
	s_load_dwordx4 s[12:15], s[0:1], 0x4
	s_load_dwordx4 s[16:19], s[0:1], 0x10
	s_load_dwordx2 s[20:21], s[0:1], 0x20
	s_load_dwordx8 s[4:11], s[0:1], 0x30
	s_waitcnt lgkmcnt(0)
	s_bitcmp1_b32 s29, 0
	s_cselect_b64 s[22:23], -1, 0
	s_bitcmp1_b32 s12, 8
	s_mov_b32 s27, 0
	s_cselect_b64 s[24:25], -1, 0
	s_lshl_b64 s[26:27], s[26:27], 3
	s_add_u32 s16, s16, s26
	s_addc_u32 s17, s17, s27
	s_add_u32 s4, s4, s26
	s_addc_u32 s5, s5, s27
	;; [unrolled: 2-line block ×3, first 2 shown]
	s_load_dwordx2 s[16:17], s[16:17], 0x0
	v_and_b32_e32 v1, 0x3ff, v0
	s_load_dwordx2 s[4:5], s[4:5], 0x0
	v_bfe_u32 v0, v0, 10, 10
	s_load_dwordx2 s[6:7], s[6:7], 0x0
	v_mad_u32_u24 v13, v0, s3, v1
	v_and_b32_e32 v17, 63, v13
	s_lshl_b32 s12, s2, 6
	s_mov_b64 s[0:1], -1
	v_lshrrev_b32_e32 v0, 6, v13
	s_cmpk_lg_i32 s28, 0x6f
	v_or_b32_e32 v4, s12, v17
                                        ; implicit-def: $vgpr2_vgpr3
	s_cbranch_scc0 .LBB19_32
; %bb.2:
	v_mov_b32_e32 v7, 0
	v_mov_b32_e32 v1, v7
	v_cmp_gt_i64_e32 vcc, s[20:21], v[0:1]
	v_cmp_ge_i32_e64 s[0:1], s14, v0
	s_and_b64 s[0:1], s[0:1], vcc
	v_mov_b64_e32 v[2:3], 0
	s_and_saveexec_b64 s[26:27], s[0:1]
	s_cbranch_execz .LBB19_31
; %bb.3:
	s_xor_b64 s[28:29], s[22:23], -1
	s_xor_b64 s[30:31], s[24:25], -1
	s_lshl_b64 s[2:3], s[18:19], 3
	v_ashrrev_i32_e32 v5, 31, v4
	s_waitcnt lgkmcnt(0)
	s_add_u32 s34, s16, s2
	v_mul_lo_u32 v6, s21, v4
	v_mul_lo_u32 v8, s20, v5
	v_mad_u64_u32 v[2:3], s[36:37], s20, v4, 0
	s_addc_u32 s35, s17, s3
	v_add3_u32 v3, v3, v8, v6
	v_add_u32_e32 v12, s12, v17
	v_lshl_add_u64 v[8:9], v[2:3], 3, s[34:35]
	v_ashrrev_i32_e32 v2, 31, v12
	v_mul_lo_u32 v6, s20, v2
	v_mul_lo_u32 v14, s21, v12
	v_mad_u64_u32 v[2:3], s[34:35], s20, v12, 0
	v_add3_u32 v3, v3, v6, v14
	v_lshl_add_u64 v[2:3], v[2:3], 3, s[2:3]
	v_lshlrev_b32_e32 v6, 3, v0
	v_lshl_add_u64 v[2:3], v[2:3], 0, v[6:7]
	v_cmp_gt_i32_e64 s[0:1], s13, v4
	v_xad_u32 v22, v4, -1, s13
	v_lshl_add_u64 v[10:11], v[4:5], 3, s[4:5]
	v_sub_u32_e32 v5, s14, v4
	v_lshl_add_u64 v[14:15], s[16:17], 0, v[2:3]
	v_subrev_u32_e32 v16, s14, v12
	v_mov_b64_e32 v[2:3], 0
	s_mov_b64 s[34:35], 0
	s_mov_b64 s[36:37], 0x80
	v_mov_b64_e32 v[18:19], v[0:1]
	s_branch .LBB19_9
.LBB19_4:                               ;   in Loop: Header=BB19_9 Depth=1
	v_mov_b64_e32 v[2:3], v[20:21]
.LBB19_5:                               ;   in Loop: Header=BB19_9 Depth=1
	s_or_b64 exec, exec, s[40:41]
.LBB19_6:                               ;   in Loop: Header=BB19_9 Depth=1
	s_or_b64 exec, exec, s[2:3]
	v_mov_b64_e32 v[20:21], v[2:3]
.LBB19_7:                               ;   in Loop: Header=BB19_9 Depth=1
	v_mov_b64_e32 v[2:3], v[20:21]
.LBB19_8:                               ;   in Loop: Header=BB19_9 Depth=1
	s_or_b64 exec, exec, s[38:39]
	v_lshl_add_u64 v[18:19], v[18:19], 0, 16
	v_mov_b32_e32 v6, v18
	v_cmp_le_u64_e32 vcc, s[20:21], v[6:7]
	v_cmp_lt_i32_e64 s[2:3], s14, v18
	s_or_b64 s[2:3], s[2:3], vcc
	s_and_b64 s[2:3], exec, s[2:3]
	s_or_b64 s[34:35], s[2:3], s[34:35]
	v_lshl_add_u64 v[14:15], v[14:15], 0, s[36:37]
	s_andn2_b64 exec, exec, s[34:35]
	s_cbranch_execz .LBB19_30
.LBB19_9:                               ; =>This Inner Loop Header: Depth=1
	s_and_saveexec_b64 s[38:39], s[0:1]
	s_cbranch_execz .LBB19_8
; %bb.10:                               ;   in Loop: Header=BB19_9 Depth=1
	s_mov_b64 s[2:3], -1
	s_and_b64 vcc, exec, s[28:29]
                                        ; implicit-def: $vgpr20_vgpr21
	s_cbranch_vccz .LBB19_21
; %bb.11:                               ;   in Loop: Header=BB19_9 Depth=1
	v_cmp_lt_i32_e32 vcc, v22, v18
	v_cmp_eq_u64_e64 s[2:3], 0, v[18:19]
	s_or_b64 s[2:3], s[2:3], vcc
                                        ; implicit-def: $vgpr20_vgpr21
	s_and_saveexec_b64 s[40:41], s[2:3]
	s_xor_b64 s[2:3], exec, s[40:41]
	s_cbranch_execz .LBB19_18
; %bb.12:                               ;   in Loop: Header=BB19_9 Depth=1
	v_cmp_eq_u64_e32 vcc, 0, v[18:19]
	v_mov_b64_e32 v[20:21], v[2:3]
	s_and_saveexec_b64 s[40:41], vcc
	s_cbranch_execz .LBB19_17
; %bb.13:                               ;   in Loop: Header=BB19_9 Depth=1
	s_mov_b64 s[42:43], -1
	s_and_b64 vcc, exec, s[30:31]
                                        ; implicit-def: $vgpr20_vgpr21
	s_cbranch_vccz .LBB19_15
; %bb.14:                               ;   in Loop: Header=BB19_9 Depth=1
	flat_load_dwordx2 v[20:21], v[8:9]
	flat_load_dwordx2 v[24:25], v[10:11]
	s_mov_b64 s[42:43], 0
	s_waitcnt vmcnt(0) lgkmcnt(0)
	v_fma_f64 v[20:21], v[20:21], v[24:25], v[2:3]
.LBB19_15:                              ;   in Loop: Header=BB19_9 Depth=1
	s_andn2_b64 vcc, exec, s[42:43]
	s_cbranch_vccnz .LBB19_17
; %bb.16:                               ;   in Loop: Header=BB19_9 Depth=1
	flat_load_dwordx2 v[20:21], v[10:11]
	s_waitcnt vmcnt(0) lgkmcnt(0)
	v_add_f64 v[20:21], v[2:3], v[20:21]
.LBB19_17:                              ;   in Loop: Header=BB19_9 Depth=1
	s_or_b64 exec, exec, s[40:41]
.LBB19_18:                              ;   in Loop: Header=BB19_9 Depth=1
	s_andn2_saveexec_b64 s[2:3], s[2:3]
	s_cbranch_execz .LBB19_20
; %bb.19:                               ;   in Loop: Header=BB19_9 Depth=1
	v_add_u32_e32 v24, v12, v18
	v_ashrrev_i32_e32 v25, 31, v24
	v_lshl_add_u64 v[24:25], v[24:25], 3, s[4:5]
	flat_load_dwordx2 v[20:21], v[14:15]
	s_nop 0
	flat_load_dwordx2 v[24:25], v[24:25]
	s_waitcnt vmcnt(0) lgkmcnt(0)
	v_fma_f64 v[20:21], v[20:21], v[24:25], v[2:3]
.LBB19_20:                              ;   in Loop: Header=BB19_9 Depth=1
	s_or_b64 exec, exec, s[2:3]
	s_mov_b64 s[2:3], 0
.LBB19_21:                              ;   in Loop: Header=BB19_9 Depth=1
	s_andn2_b64 vcc, exec, s[2:3]
	s_cbranch_vccnz .LBB19_7
; %bb.22:                               ;   in Loop: Header=BB19_9 Depth=1
	v_cmp_gt_i32_e32 vcc, s14, v18
	v_cmp_le_i32_e64 s[2:3], v5, v18
	s_and_b64 s[2:3], vcc, s[2:3]
	s_and_saveexec_b64 s[40:41], s[2:3]
	s_xor_b64 s[2:3], exec, s[40:41]
	s_cbranch_execz .LBB19_24
; %bb.23:                               ;   in Loop: Header=BB19_9 Depth=1
	v_add_u32_e32 v6, v16, v18
	v_lshl_add_u64 v[24:25], v[6:7], 3, s[4:5]
	flat_load_dwordx2 v[20:21], v[14:15]
	s_nop 0
	flat_load_dwordx2 v[24:25], v[24:25]
	s_waitcnt vmcnt(0) lgkmcnt(0)
	v_fmac_f64_e32 v[2:3], v[20:21], v[24:25]
.LBB19_24:                              ;   in Loop: Header=BB19_9 Depth=1
	s_andn2_saveexec_b64 s[2:3], s[2:3]
	s_cbranch_execz .LBB19_6
; %bb.25:                               ;   in Loop: Header=BB19_9 Depth=1
	v_cmp_eq_u32_e32 vcc, s14, v18
	s_and_saveexec_b64 s[40:41], vcc
	s_cbranch_execz .LBB19_5
; %bb.26:                               ;   in Loop: Header=BB19_9 Depth=1
	s_mov_b64 s[42:43], -1
	s_and_b64 vcc, exec, s[30:31]
                                        ; implicit-def: $vgpr20_vgpr21
	s_cbranch_vccz .LBB19_28
; %bb.27:                               ;   in Loop: Header=BB19_9 Depth=1
	flat_load_dwordx2 v[20:21], v[14:15]
	flat_load_dwordx2 v[24:25], v[10:11]
	s_mov_b64 s[42:43], 0
	s_waitcnt vmcnt(0) lgkmcnt(0)
	v_fma_f64 v[20:21], v[20:21], v[24:25], v[2:3]
.LBB19_28:                              ;   in Loop: Header=BB19_9 Depth=1
	s_andn2_b64 vcc, exec, s[42:43]
	s_cbranch_vccnz .LBB19_4
; %bb.29:                               ;   in Loop: Header=BB19_9 Depth=1
	flat_load_dwordx2 v[20:21], v[10:11]
	s_waitcnt vmcnt(0) lgkmcnt(0)
	v_add_f64 v[20:21], v[2:3], v[20:21]
	s_branch .LBB19_4
.LBB19_30:
	s_or_b64 exec, exec, s[34:35]
.LBB19_31:
	s_or_b64 exec, exec, s[26:27]
	s_mov_b64 s[0:1], 0
.LBB19_32:
	s_andn2_b64 vcc, exec, s[0:1]
	s_cbranch_vccnz .LBB19_58
; %bb.33:
	v_cmp_gt_i32_e32 vcc, s13, v0
	v_mov_b64_e32 v[2:3], 0
	s_and_saveexec_b64 s[26:27], vcc
	s_cbranch_execz .LBB19_57
; %bb.34:
	s_and_b64 s[0:1], s[22:23], exec
	s_cselect_b32 s30, s14, 0
	s_and_b64 s[2:3], s[22:23], s[24:25]
	v_cmp_gt_i32_e64 s[0:1], s13, v4
	s_xor_b64 s[28:29], s[2:3], -1
	s_xor_b64 s[2:3], s[24:25], -1
	v_lshlrev_b32_e32 v4, 3, v0
	v_mov_b32_e32 v5, 0
	s_cmp_lg_u32 s14, 0
	s_waitcnt lgkmcnt(0)
	v_lshl_add_u64 v[6:7], s[4:5], 0, v[4:5]
	v_mad_u64_u32 v[2:3], s[4:5], s20, v0, 0
	s_cselect_b64 s[24:25], -1, 0
	v_mov_b32_e32 v4, v3
	s_and_b64 s[22:23], s[22:23], s[24:25]
	v_mad_u64_u32 v[8:9], s[4:5], s21, v0, v[4:5]
	s_nor_b64 s[2:3], s[22:23], s[2:3]
	s_ashr_i32 s15, s14, 31
	s_lshl_b64 s[4:5], s[18:19], 3
	s_add_u32 s4, s16, s4
	s_addc_u32 s5, s17, s5
	s_add_i32 s30, s30, s12
	v_add_u32_e32 v1, s30, v17
	v_mov_b32_e32 v3, v8
	v_sub_u32_e32 v4, v1, v0
	v_cndmask_b32_e64 v1, 0, 1, s[2:3]
	v_lshl_add_u64 v[8:9], v[2:3], 3, s[4:5]
	s_lshl_b64 s[16:17], s[20:21], 7
	s_lshl_b64 s[18:19], s[14:15], 3
	v_mov_b64_e32 v[2:3], 0
	s_mov_b64 s[20:21], 0
	v_cmp_ne_u32_e64 s[2:3], 1, v1
	s_mov_b64 s[22:23], 0x80
	s_branch .LBB19_37
.LBB19_35:                              ;   in Loop: Header=BB19_37 Depth=1
	s_or_b64 exec, exec, s[4:5]
.LBB19_36:                              ;   in Loop: Header=BB19_37 Depth=1
	s_or_b64 exec, exec, s[24:25]
	v_add_u32_e32 v0, 16, v0
	v_cmp_le_i32_e32 vcc, s13, v0
	v_lshl_add_u64 v[6:7], v[6:7], 0, s[22:23]
	v_lshl_add_u64 v[8:9], v[8:9], 0, s[16:17]
	s_or_b64 s[20:21], vcc, s[20:21]
	v_add_u32_e32 v4, -16, v4
	s_andn2_b64 exec, exec, s[20:21]
	s_cbranch_execz .LBB19_56
.LBB19_37:                              ; =>This Inner Loop Header: Depth=1
	s_and_saveexec_b64 s[24:25], s[0:1]
	s_cbranch_execz .LBB19_36
; %bb.38:                               ;   in Loop: Header=BB19_37 Depth=1
	v_cmp_le_i32_e32 vcc, s14, v4
	v_cmp_gt_i32_e64 s[4:5], 1, v4
	s_or_b64 s[4:5], vcc, s[4:5]
	s_and_saveexec_b64 s[30:31], s[4:5]
	s_xor_b64 s[4:5], exec, s[30:31]
	s_cbranch_execz .LBB19_54
; %bb.39:                               ;   in Loop: Header=BB19_37 Depth=1
	v_cmp_ne_u32_e32 vcc, 0, v4
	s_and_saveexec_b64 s[30:31], vcc
	s_xor_b64 s[30:31], exec, s[30:31]
	s_cbranch_execz .LBB19_47
; %bb.40:                               ;   in Loop: Header=BB19_37 Depth=1
	v_cmp_eq_u32_e32 vcc, s14, v4
	s_and_saveexec_b64 s[34:35], vcc
	s_cbranch_execz .LBB19_46
; %bb.41:                               ;   in Loop: Header=BB19_37 Depth=1
	s_mov_b64 s[36:37], -1
	s_and_b64 vcc, exec, s[28:29]
                                        ; implicit-def: $vgpr10_vgpr11
	s_cbranch_vccz .LBB19_43
; %bb.42:                               ;   in Loop: Header=BB19_37 Depth=1
	v_lshl_add_u64 v[10:11], v[8:9], 0, s[18:19]
	flat_load_dwordx2 v[14:15], v[6:7]
	flat_load_dwordx2 v[16:17], v[10:11]
	s_mov_b64 s[36:37], 0
	s_waitcnt vmcnt(0) lgkmcnt(0)
	v_fma_f64 v[10:11], v[16:17], v[14:15], v[2:3]
.LBB19_43:                              ;   in Loop: Header=BB19_37 Depth=1
	s_andn2_b64 vcc, exec, s[36:37]
	s_cbranch_vccnz .LBB19_45
; %bb.44:                               ;   in Loop: Header=BB19_37 Depth=1
	flat_load_dwordx2 v[10:11], v[6:7]
	s_waitcnt vmcnt(0) lgkmcnt(0)
	v_add_f64 v[10:11], v[2:3], v[10:11]
.LBB19_45:                              ;   in Loop: Header=BB19_37 Depth=1
	v_mov_b64_e32 v[2:3], v[10:11]
.LBB19_46:                              ;   in Loop: Header=BB19_37 Depth=1
	s_or_b64 exec, exec, s[34:35]
.LBB19_47:                              ;   in Loop: Header=BB19_37 Depth=1
	s_andn2_saveexec_b64 s[30:31], s[30:31]
	s_cbranch_execz .LBB19_53
; %bb.48:                               ;   in Loop: Header=BB19_37 Depth=1
	s_and_b64 vcc, exec, s[2:3]
	s_mov_b64 s[34:35], -1
                                        ; implicit-def: $vgpr10_vgpr11
	s_cbranch_vccnz .LBB19_50
; %bb.49:                               ;   in Loop: Header=BB19_37 Depth=1
	flat_load_dwordx2 v[10:11], v[6:7]
	s_mov_b64 s[34:35], 0
	s_waitcnt vmcnt(0) lgkmcnt(0)
	v_add_f64 v[10:11], v[2:3], v[10:11]
.LBB19_50:                              ;   in Loop: Header=BB19_37 Depth=1
	s_andn2_b64 vcc, exec, s[34:35]
	s_cbranch_vccnz .LBB19_52
; %bb.51:                               ;   in Loop: Header=BB19_37 Depth=1
	flat_load_dwordx2 v[10:11], v[8:9]
	flat_load_dwordx2 v[14:15], v[6:7]
	s_waitcnt vmcnt(0) lgkmcnt(0)
	v_fmac_f64_e32 v[2:3], v[10:11], v[14:15]
	v_mov_b64_e32 v[10:11], v[2:3]
.LBB19_52:                              ;   in Loop: Header=BB19_37 Depth=1
	v_mov_b64_e32 v[2:3], v[10:11]
.LBB19_53:                              ;   in Loop: Header=BB19_37 Depth=1
	s_or_b64 exec, exec, s[30:31]
.LBB19_54:                              ;   in Loop: Header=BB19_37 Depth=1
	s_andn2_saveexec_b64 s[4:5], s[4:5]
	s_cbranch_execz .LBB19_35
; %bb.55:                               ;   in Loop: Header=BB19_37 Depth=1
	v_lshl_add_u64 v[10:11], v[4:5], 3, v[8:9]
	flat_load_dwordx2 v[14:15], v[10:11]
	flat_load_dwordx2 v[16:17], v[6:7]
	s_waitcnt vmcnt(0) lgkmcnt(0)
	v_fmac_f64_e32 v[2:3], v[14:15], v[16:17]
	s_branch .LBB19_35
.LBB19_56:
	s_or_b64 exec, exec, s[20:21]
.LBB19_57:
	s_or_b64 exec, exec, s[26:27]
.LBB19_58:
	v_add_u32_e32 v1, s12, v13
	v_cmp_gt_u32_e32 vcc, 64, v13
	v_cmp_gt_i32_e64 s[0:1], s13, v1
	v_lshlrev_b32_e32 v0, 3, v13
	s_and_b64 s[0:1], vcc, s[0:1]
	ds_write_b64 v0, v[2:3]
	s_waitcnt lgkmcnt(0)
	s_barrier
	s_and_saveexec_b64 s[2:3], s[0:1]
	s_cbranch_execz .LBB19_60
; %bb.59:
	ds_read2st64_b64 v[2:5], v0 offset1:1
	ds_read2st64_b64 v[6:9], v0 offset0:2 offset1:3
	ds_read2st64_b64 v[10:13], v0 offset0:4 offset1:5
	s_lshl_b64 s[0:1], s[8:9], 3
	s_add_u32 s0, s6, s0
	s_waitcnt lgkmcnt(2)
	v_add_f64 v[2:3], v[2:3], v[4:5]
	s_waitcnt lgkmcnt(1)
	v_add_f64 v[6:7], v[6:7], v[2:3]
	ds_read2st64_b64 v[2:5], v0 offset0:6 offset1:7
	v_add_f64 v[6:7], v[8:9], v[6:7]
	s_waitcnt lgkmcnt(1)
	v_add_f64 v[10:11], v[10:11], v[6:7]
	ds_read2st64_b64 v[6:9], v0 offset0:8 offset1:9
	v_add_f64 v[10:11], v[12:13], v[10:11]
	s_waitcnt lgkmcnt(1)
	v_add_f64 v[2:3], v[2:3], v[10:11]
	v_add_f64 v[10:11], v[4:5], v[2:3]
	ds_read2st64_b64 v[2:5], v0 offset0:10 offset1:11
	s_waitcnt lgkmcnt(1)
	v_add_f64 v[6:7], v[6:7], v[10:11]
	ds_read2st64_b64 v[10:13], v0 offset0:12 offset1:13
	v_add_f64 v[14:15], v[8:9], v[6:7]
	ds_read2st64_b64 v[6:9], v0 offset0:14 offset1:15
	s_waitcnt lgkmcnt(2)
	v_add_f64 v[2:3], v[2:3], v[14:15]
	v_add_f64 v[2:3], v[4:5], v[2:3]
	s_waitcnt lgkmcnt(1)
	v_add_f64 v[2:3], v[10:11], v[2:3]
	v_add_f64 v[2:3], v[12:13], v[2:3]
	s_waitcnt lgkmcnt(0)
	v_add_f64 v[2:3], v[6:7], v[2:3]
	v_add_f64 v[2:3], v[8:9], v[2:3]
	ds_write_b64 v0, v[2:3]
	v_ashrrev_i32_e32 v0, 31, v1
	v_mul_lo_u32 v4, s11, v1
	v_mul_lo_u32 v5, s10, v0
	v_mad_u64_u32 v[0:1], s[2:3], s10, v1, 0
	s_addc_u32 s1, s7, s1
	v_add3_u32 v1, v1, v5, v4
	v_lshl_add_u64 v[0:1], v[0:1], 3, s[0:1]
	flat_store_dwordx2 v[0:1], v[2:3]
.LBB19_60:
	s_endpgm
	.section	.rodata,"a",@progbits
	.p2align	6, 0x0
	.amdhsa_kernel _ZL20rocblas_tbmvx_kernelILi64ELi16EPKPKdPKPdEv18rocblas_operation_bbiiT1_lllS8_T2_llli
		.amdhsa_group_segment_fixed_size 8192
		.amdhsa_private_segment_fixed_size 0
		.amdhsa_kernarg_size 352
		.amdhsa_user_sgpr_count 2
		.amdhsa_user_sgpr_dispatch_ptr 0
		.amdhsa_user_sgpr_queue_ptr 0
		.amdhsa_user_sgpr_kernarg_segment_ptr 1
		.amdhsa_user_sgpr_dispatch_id 0
		.amdhsa_user_sgpr_kernarg_preload_length 0
		.amdhsa_user_sgpr_kernarg_preload_offset 0
		.amdhsa_user_sgpr_private_segment_size 0
		.amdhsa_uses_dynamic_stack 0
		.amdhsa_enable_private_segment 0
		.amdhsa_system_sgpr_workgroup_id_x 1
		.amdhsa_system_sgpr_workgroup_id_y 0
		.amdhsa_system_sgpr_workgroup_id_z 1
		.amdhsa_system_sgpr_workgroup_info 0
		.amdhsa_system_vgpr_workitem_id 1
		.amdhsa_next_free_vgpr 26
		.amdhsa_next_free_sgpr 44
		.amdhsa_accum_offset 28
		.amdhsa_reserve_vcc 1
		.amdhsa_float_round_mode_32 0
		.amdhsa_float_round_mode_16_64 0
		.amdhsa_float_denorm_mode_32 3
		.amdhsa_float_denorm_mode_16_64 3
		.amdhsa_dx10_clamp 1
		.amdhsa_ieee_mode 1
		.amdhsa_fp16_overflow 0
		.amdhsa_tg_split 0
		.amdhsa_exception_fp_ieee_invalid_op 0
		.amdhsa_exception_fp_denorm_src 0
		.amdhsa_exception_fp_ieee_div_zero 0
		.amdhsa_exception_fp_ieee_overflow 0
		.amdhsa_exception_fp_ieee_underflow 0
		.amdhsa_exception_fp_ieee_inexact 0
		.amdhsa_exception_int_div_zero 0
	.end_amdhsa_kernel
	.section	.text._ZL20rocblas_tbmvx_kernelILi64ELi16EPKPKdPKPdEv18rocblas_operation_bbiiT1_lllS8_T2_llli,"axG",@progbits,_ZL20rocblas_tbmvx_kernelILi64ELi16EPKPKdPKPdEv18rocblas_operation_bbiiT1_lllS8_T2_llli,comdat
.Lfunc_end19:
	.size	_ZL20rocblas_tbmvx_kernelILi64ELi16EPKPKdPKPdEv18rocblas_operation_bbiiT1_lllS8_T2_llli, .Lfunc_end19-_ZL20rocblas_tbmvx_kernelILi64ELi16EPKPKdPKPdEv18rocblas_operation_bbiiT1_lllS8_T2_llli
                                        ; -- End function
	.set _ZL20rocblas_tbmvx_kernelILi64ELi16EPKPKdPKPdEv18rocblas_operation_bbiiT1_lllS8_T2_llli.num_vgpr, 26
	.set _ZL20rocblas_tbmvx_kernelILi64ELi16EPKPKdPKPdEv18rocblas_operation_bbiiT1_lllS8_T2_llli.num_agpr, 0
	.set _ZL20rocblas_tbmvx_kernelILi64ELi16EPKPKdPKPdEv18rocblas_operation_bbiiT1_lllS8_T2_llli.numbered_sgpr, 44
	.set _ZL20rocblas_tbmvx_kernelILi64ELi16EPKPKdPKPdEv18rocblas_operation_bbiiT1_lllS8_T2_llli.num_named_barrier, 0
	.set _ZL20rocblas_tbmvx_kernelILi64ELi16EPKPKdPKPdEv18rocblas_operation_bbiiT1_lllS8_T2_llli.private_seg_size, 0
	.set _ZL20rocblas_tbmvx_kernelILi64ELi16EPKPKdPKPdEv18rocblas_operation_bbiiT1_lllS8_T2_llli.uses_vcc, 1
	.set _ZL20rocblas_tbmvx_kernelILi64ELi16EPKPKdPKPdEv18rocblas_operation_bbiiT1_lllS8_T2_llli.uses_flat_scratch, 0
	.set _ZL20rocblas_tbmvx_kernelILi64ELi16EPKPKdPKPdEv18rocblas_operation_bbiiT1_lllS8_T2_llli.has_dyn_sized_stack, 0
	.set _ZL20rocblas_tbmvx_kernelILi64ELi16EPKPKdPKPdEv18rocblas_operation_bbiiT1_lllS8_T2_llli.has_recursion, 0
	.set _ZL20rocblas_tbmvx_kernelILi64ELi16EPKPKdPKPdEv18rocblas_operation_bbiiT1_lllS8_T2_llli.has_indirect_call, 0
	.section	.AMDGPU.csdata,"",@progbits
; Kernel info:
; codeLenInByte = 1784
; TotalNumSgprs: 50
; NumVgprs: 26
; NumAgprs: 0
; TotalNumVgprs: 26
; ScratchSize: 0
; MemoryBound: 1
; FloatMode: 240
; IeeeMode: 1
; LDSByteSize: 8192 bytes/workgroup (compile time only)
; SGPRBlocks: 6
; VGPRBlocks: 3
; NumSGPRsForWavesPerEU: 50
; NumVGPRsForWavesPerEU: 26
; AccumOffset: 28
; Occupancy: 8
; WaveLimiterHint : 1
; COMPUTE_PGM_RSRC2:SCRATCH_EN: 0
; COMPUTE_PGM_RSRC2:USER_SGPR: 2
; COMPUTE_PGM_RSRC2:TRAP_HANDLER: 0
; COMPUTE_PGM_RSRC2:TGID_X_EN: 1
; COMPUTE_PGM_RSRC2:TGID_Y_EN: 0
; COMPUTE_PGM_RSRC2:TGID_Z_EN: 1
; COMPUTE_PGM_RSRC2:TIDIG_COMP_CNT: 1
; COMPUTE_PGM_RSRC3_GFX90A:ACCUM_OFFSET: 6
; COMPUTE_PGM_RSRC3_GFX90A:TG_SPLIT: 0
	.section	.text._ZL19rocblas_copy_kernelIlLi256EPKP19rocblas_complex_numIfES4_EviT1_lT_lT2_lS6_li,"axG",@progbits,_ZL19rocblas_copy_kernelIlLi256EPKP19rocblas_complex_numIfES4_EviT1_lT_lT2_lS6_li,comdat
	.globl	_ZL19rocblas_copy_kernelIlLi256EPKP19rocblas_complex_numIfES4_EviT1_lT_lT2_lS6_li ; -- Begin function _ZL19rocblas_copy_kernelIlLi256EPKP19rocblas_complex_numIfES4_EviT1_lT_lT2_lS6_li
	.p2align	8
	.type	_ZL19rocblas_copy_kernelIlLi256EPKP19rocblas_complex_numIfES4_EviT1_lT_lT2_lS6_li,@function
_ZL19rocblas_copy_kernelIlLi256EPKP19rocblas_complex_numIfES4_EviT1_lT_lT2_lS6_li: ; @_ZL19rocblas_copy_kernelIlLi256EPKP19rocblas_complex_numIfES4_EviT1_lT_lT2_lS6_li
; %bb.0:
	s_load_dword s6, s[0:1], 0x0
	v_lshl_or_b32 v0, s2, 8, v0
	v_mov_b32_e32 v1, 0
	s_mov_b32 s4, s3
	s_waitcnt lgkmcnt(0)
	s_ashr_i32 s7, s6, 31
	v_cmp_gt_i64_e32 vcc, s[6:7], v[0:1]
	s_and_saveexec_b64 s[2:3], vcc
	s_cbranch_execz .LBB20_2
; %bb.1:
	s_load_dwordx4 s[8:11], s[0:1], 0x28
	s_load_dwordx2 s[2:3], s[0:1], 0x18
	s_load_dwordx2 s[12:13], s[0:1], 0x38
	s_mov_b32 s5, 0
	s_lshl_b64 s[14:15], s[4:5], 3
	s_waitcnt lgkmcnt(0)
	s_add_u32 s8, s8, s14
	s_addc_u32 s9, s9, s15
	s_load_dwordx2 s[16:17], s[8:9], 0x0
	s_load_dwordx4 s[4:7], s[0:1], 0x8
	v_mad_u64_u32 v[2:3], s[0:1], s2, v0, 0
	s_lshl_b64 s[0:1], s[10:11], 3
	s_waitcnt lgkmcnt(0)
	s_add_u32 s0, s16, s0
	s_addc_u32 s1, s17, s1
	s_add_u32 s4, s4, s14
	s_addc_u32 s5, s5, s15
	s_load_dwordx2 s[4:5], s[4:5], 0x0
	v_mov_b32_e32 v4, v3
	v_mad_u64_u32 v[4:5], s[2:3], s3, v0, v[4:5]
	s_lshl_b64 s[2:3], s[6:7], 3
	s_waitcnt lgkmcnt(0)
	s_add_u32 s2, s4, s2
	s_addc_u32 s3, s5, s3
	v_mov_b32_e32 v3, v4
	v_lshl_add_u64 v[2:3], v[2:3], 3, s[2:3]
	flat_load_dwordx2 v[2:3], v[2:3]
	v_mad_u64_u32 v[4:5], s[2:3], s12, v0, 0
	v_mov_b32_e32 v6, v5
	v_mad_u64_u32 v[0:1], s[2:3], s13, v0, v[6:7]
	v_mov_b32_e32 v5, v0
	v_lshl_add_u64 v[0:1], v[4:5], 3, s[0:1]
	s_waitcnt vmcnt(0) lgkmcnt(0)
	flat_store_dwordx2 v[0:1], v[2:3]
.LBB20_2:
	s_endpgm
	.section	.rodata,"a",@progbits
	.p2align	6, 0x0
	.amdhsa_kernel _ZL19rocblas_copy_kernelIlLi256EPKP19rocblas_complex_numIfES4_EviT1_lT_lT2_lS6_li
		.amdhsa_group_segment_fixed_size 0
		.amdhsa_private_segment_fixed_size 0
		.amdhsa_kernarg_size 76
		.amdhsa_user_sgpr_count 2
		.amdhsa_user_sgpr_dispatch_ptr 0
		.amdhsa_user_sgpr_queue_ptr 0
		.amdhsa_user_sgpr_kernarg_segment_ptr 1
		.amdhsa_user_sgpr_dispatch_id 0
		.amdhsa_user_sgpr_kernarg_preload_length 0
		.amdhsa_user_sgpr_kernarg_preload_offset 0
		.amdhsa_user_sgpr_private_segment_size 0
		.amdhsa_uses_dynamic_stack 0
		.amdhsa_enable_private_segment 0
		.amdhsa_system_sgpr_workgroup_id_x 1
		.amdhsa_system_sgpr_workgroup_id_y 0
		.amdhsa_system_sgpr_workgroup_id_z 1
		.amdhsa_system_sgpr_workgroup_info 0
		.amdhsa_system_vgpr_workitem_id 0
		.amdhsa_next_free_vgpr 8
		.amdhsa_next_free_sgpr 18
		.amdhsa_accum_offset 8
		.amdhsa_reserve_vcc 1
		.amdhsa_float_round_mode_32 0
		.amdhsa_float_round_mode_16_64 0
		.amdhsa_float_denorm_mode_32 3
		.amdhsa_float_denorm_mode_16_64 3
		.amdhsa_dx10_clamp 1
		.amdhsa_ieee_mode 1
		.amdhsa_fp16_overflow 0
		.amdhsa_tg_split 0
		.amdhsa_exception_fp_ieee_invalid_op 0
		.amdhsa_exception_fp_denorm_src 0
		.amdhsa_exception_fp_ieee_div_zero 0
		.amdhsa_exception_fp_ieee_overflow 0
		.amdhsa_exception_fp_ieee_underflow 0
		.amdhsa_exception_fp_ieee_inexact 0
		.amdhsa_exception_int_div_zero 0
	.end_amdhsa_kernel
	.section	.text._ZL19rocblas_copy_kernelIlLi256EPKP19rocblas_complex_numIfES4_EviT1_lT_lT2_lS6_li,"axG",@progbits,_ZL19rocblas_copy_kernelIlLi256EPKP19rocblas_complex_numIfES4_EviT1_lT_lT2_lS6_li,comdat
.Lfunc_end20:
	.size	_ZL19rocblas_copy_kernelIlLi256EPKP19rocblas_complex_numIfES4_EviT1_lT_lT2_lS6_li, .Lfunc_end20-_ZL19rocblas_copy_kernelIlLi256EPKP19rocblas_complex_numIfES4_EviT1_lT_lT2_lS6_li
                                        ; -- End function
	.set _ZL19rocblas_copy_kernelIlLi256EPKP19rocblas_complex_numIfES4_EviT1_lT_lT2_lS6_li.num_vgpr, 8
	.set _ZL19rocblas_copy_kernelIlLi256EPKP19rocblas_complex_numIfES4_EviT1_lT_lT2_lS6_li.num_agpr, 0
	.set _ZL19rocblas_copy_kernelIlLi256EPKP19rocblas_complex_numIfES4_EviT1_lT_lT2_lS6_li.numbered_sgpr, 18
	.set _ZL19rocblas_copy_kernelIlLi256EPKP19rocblas_complex_numIfES4_EviT1_lT_lT2_lS6_li.num_named_barrier, 0
	.set _ZL19rocblas_copy_kernelIlLi256EPKP19rocblas_complex_numIfES4_EviT1_lT_lT2_lS6_li.private_seg_size, 0
	.set _ZL19rocblas_copy_kernelIlLi256EPKP19rocblas_complex_numIfES4_EviT1_lT_lT2_lS6_li.uses_vcc, 1
	.set _ZL19rocblas_copy_kernelIlLi256EPKP19rocblas_complex_numIfES4_EviT1_lT_lT2_lS6_li.uses_flat_scratch, 0
	.set _ZL19rocblas_copy_kernelIlLi256EPKP19rocblas_complex_numIfES4_EviT1_lT_lT2_lS6_li.has_dyn_sized_stack, 0
	.set _ZL19rocblas_copy_kernelIlLi256EPKP19rocblas_complex_numIfES4_EviT1_lT_lT2_lS6_li.has_recursion, 0
	.set _ZL19rocblas_copy_kernelIlLi256EPKP19rocblas_complex_numIfES4_EviT1_lT_lT2_lS6_li.has_indirect_call, 0
	.section	.AMDGPU.csdata,"",@progbits
; Kernel info:
; codeLenInByte = 240
; TotalNumSgprs: 24
; NumVgprs: 8
; NumAgprs: 0
; TotalNumVgprs: 8
; ScratchSize: 0
; MemoryBound: 0
; FloatMode: 240
; IeeeMode: 1
; LDSByteSize: 0 bytes/workgroup (compile time only)
; SGPRBlocks: 2
; VGPRBlocks: 0
; NumSGPRsForWavesPerEU: 24
; NumVGPRsForWavesPerEU: 8
; AccumOffset: 8
; Occupancy: 8
; WaveLimiterHint : 1
; COMPUTE_PGM_RSRC2:SCRATCH_EN: 0
; COMPUTE_PGM_RSRC2:USER_SGPR: 2
; COMPUTE_PGM_RSRC2:TRAP_HANDLER: 0
; COMPUTE_PGM_RSRC2:TGID_X_EN: 1
; COMPUTE_PGM_RSRC2:TGID_Y_EN: 0
; COMPUTE_PGM_RSRC2:TGID_Z_EN: 1
; COMPUTE_PGM_RSRC2:TIDIG_COMP_CNT: 0
; COMPUTE_PGM_RSRC3_GFX90A:ACCUM_OFFSET: 1
; COMPUTE_PGM_RSRC3_GFX90A:TG_SPLIT: 0
	.section	.text._ZL19rocblas_copy_kernelIiLi256EPKP19rocblas_complex_numIfES4_EviT1_lT_lT2_lS6_li,"axG",@progbits,_ZL19rocblas_copy_kernelIiLi256EPKP19rocblas_complex_numIfES4_EviT1_lT_lT2_lS6_li,comdat
	.globl	_ZL19rocblas_copy_kernelIiLi256EPKP19rocblas_complex_numIfES4_EviT1_lT_lT2_lS6_li ; -- Begin function _ZL19rocblas_copy_kernelIiLi256EPKP19rocblas_complex_numIfES4_EviT1_lT_lT2_lS6_li
	.p2align	8
	.type	_ZL19rocblas_copy_kernelIiLi256EPKP19rocblas_complex_numIfES4_EviT1_lT_lT2_lS6_li,@function
_ZL19rocblas_copy_kernelIiLi256EPKP19rocblas_complex_numIfES4_EviT1_lT_lT2_lS6_li: ; @_ZL19rocblas_copy_kernelIiLi256EPKP19rocblas_complex_numIfES4_EviT1_lT_lT2_lS6_li
; %bb.0:
	s_load_dword s6, s[0:1], 0x0
	v_lshl_or_b32 v0, s2, 8, v0
	v_mov_b32_e32 v1, 0
	s_mov_b32 s4, s3
	s_waitcnt lgkmcnt(0)
	s_ashr_i32 s7, s6, 31
	v_cmp_gt_i64_e32 vcc, s[6:7], v[0:1]
	s_and_saveexec_b64 s[2:3], vcc
	s_cbranch_execz .LBB21_2
; %bb.1:
	s_load_dword s14, s[0:1], 0x18
	s_load_dword s15, s[0:1], 0x38
	s_load_dwordx4 s[8:11], s[0:1], 0x28
	s_mov_b32 s5, 0
	s_lshl_b64 s[2:3], s[4:5], 3
	s_waitcnt lgkmcnt(0)
	s_ashr_i32 s16, s14, 31
	s_ashr_i32 s17, s15, 31
	s_add_u32 s8, s8, s2
	s_addc_u32 s9, s9, s3
	s_load_dwordx2 s[12:13], s[8:9], 0x0
	s_load_dwordx4 s[4:7], s[0:1], 0x8
	s_lshl_b64 s[0:1], s[10:11], 3
	s_waitcnt lgkmcnt(0)
	s_add_u32 s0, s12, s0
	s_addc_u32 s1, s13, s1
	s_add_u32 s2, s4, s2
	s_addc_u32 s3, s5, s3
	s_load_dwordx2 s[2:3], s[2:3], 0x0
	v_mad_u64_u32 v[2:3], s[4:5], s14, v0, 0
	s_lshl_b64 s[4:5], s[6:7], 3
	v_mov_b32_e32 v4, v3
	s_waitcnt lgkmcnt(0)
	s_add_u32 s2, s2, s4
	s_addc_u32 s3, s3, s5
	v_mad_u64_u32 v[4:5], s[4:5], s16, v0, v[4:5]
	v_mov_b32_e32 v3, v4
	v_lshl_add_u64 v[2:3], v[2:3], 3, s[2:3]
	flat_load_dwordx2 v[2:3], v[2:3]
	v_mad_u64_u32 v[4:5], s[2:3], s15, v0, 0
	v_mov_b32_e32 v6, v5
	v_mad_u64_u32 v[0:1], s[2:3], s17, v0, v[6:7]
	v_mov_b32_e32 v5, v0
	v_lshl_add_u64 v[0:1], v[4:5], 3, s[0:1]
	s_waitcnt vmcnt(0) lgkmcnt(0)
	flat_store_dwordx2 v[0:1], v[2:3]
.LBB21_2:
	s_endpgm
	.section	.rodata,"a",@progbits
	.p2align	6, 0x0
	.amdhsa_kernel _ZL19rocblas_copy_kernelIiLi256EPKP19rocblas_complex_numIfES4_EviT1_lT_lT2_lS6_li
		.amdhsa_group_segment_fixed_size 0
		.amdhsa_private_segment_fixed_size 0
		.amdhsa_kernarg_size 76
		.amdhsa_user_sgpr_count 2
		.amdhsa_user_sgpr_dispatch_ptr 0
		.amdhsa_user_sgpr_queue_ptr 0
		.amdhsa_user_sgpr_kernarg_segment_ptr 1
		.amdhsa_user_sgpr_dispatch_id 0
		.amdhsa_user_sgpr_kernarg_preload_length 0
		.amdhsa_user_sgpr_kernarg_preload_offset 0
		.amdhsa_user_sgpr_private_segment_size 0
		.amdhsa_uses_dynamic_stack 0
		.amdhsa_enable_private_segment 0
		.amdhsa_system_sgpr_workgroup_id_x 1
		.amdhsa_system_sgpr_workgroup_id_y 0
		.amdhsa_system_sgpr_workgroup_id_z 1
		.amdhsa_system_sgpr_workgroup_info 0
		.amdhsa_system_vgpr_workitem_id 0
		.amdhsa_next_free_vgpr 8
		.amdhsa_next_free_sgpr 18
		.amdhsa_accum_offset 8
		.amdhsa_reserve_vcc 1
		.amdhsa_float_round_mode_32 0
		.amdhsa_float_round_mode_16_64 0
		.amdhsa_float_denorm_mode_32 3
		.amdhsa_float_denorm_mode_16_64 3
		.amdhsa_dx10_clamp 1
		.amdhsa_ieee_mode 1
		.amdhsa_fp16_overflow 0
		.amdhsa_tg_split 0
		.amdhsa_exception_fp_ieee_invalid_op 0
		.amdhsa_exception_fp_denorm_src 0
		.amdhsa_exception_fp_ieee_div_zero 0
		.amdhsa_exception_fp_ieee_overflow 0
		.amdhsa_exception_fp_ieee_underflow 0
		.amdhsa_exception_fp_ieee_inexact 0
		.amdhsa_exception_int_div_zero 0
	.end_amdhsa_kernel
	.section	.text._ZL19rocblas_copy_kernelIiLi256EPKP19rocblas_complex_numIfES4_EviT1_lT_lT2_lS6_li,"axG",@progbits,_ZL19rocblas_copy_kernelIiLi256EPKP19rocblas_complex_numIfES4_EviT1_lT_lT2_lS6_li,comdat
.Lfunc_end21:
	.size	_ZL19rocblas_copy_kernelIiLi256EPKP19rocblas_complex_numIfES4_EviT1_lT_lT2_lS6_li, .Lfunc_end21-_ZL19rocblas_copy_kernelIiLi256EPKP19rocblas_complex_numIfES4_EviT1_lT_lT2_lS6_li
                                        ; -- End function
	.set _ZL19rocblas_copy_kernelIiLi256EPKP19rocblas_complex_numIfES4_EviT1_lT_lT2_lS6_li.num_vgpr, 8
	.set _ZL19rocblas_copy_kernelIiLi256EPKP19rocblas_complex_numIfES4_EviT1_lT_lT2_lS6_li.num_agpr, 0
	.set _ZL19rocblas_copy_kernelIiLi256EPKP19rocblas_complex_numIfES4_EviT1_lT_lT2_lS6_li.numbered_sgpr, 18
	.set _ZL19rocblas_copy_kernelIiLi256EPKP19rocblas_complex_numIfES4_EviT1_lT_lT2_lS6_li.num_named_barrier, 0
	.set _ZL19rocblas_copy_kernelIiLi256EPKP19rocblas_complex_numIfES4_EviT1_lT_lT2_lS6_li.private_seg_size, 0
	.set _ZL19rocblas_copy_kernelIiLi256EPKP19rocblas_complex_numIfES4_EviT1_lT_lT2_lS6_li.uses_vcc, 1
	.set _ZL19rocblas_copy_kernelIiLi256EPKP19rocblas_complex_numIfES4_EviT1_lT_lT2_lS6_li.uses_flat_scratch, 0
	.set _ZL19rocblas_copy_kernelIiLi256EPKP19rocblas_complex_numIfES4_EviT1_lT_lT2_lS6_li.has_dyn_sized_stack, 0
	.set _ZL19rocblas_copy_kernelIiLi256EPKP19rocblas_complex_numIfES4_EviT1_lT_lT2_lS6_li.has_recursion, 0
	.set _ZL19rocblas_copy_kernelIiLi256EPKP19rocblas_complex_numIfES4_EviT1_lT_lT2_lS6_li.has_indirect_call, 0
	.section	.AMDGPU.csdata,"",@progbits
; Kernel info:
; codeLenInByte = 248
; TotalNumSgprs: 24
; NumVgprs: 8
; NumAgprs: 0
; TotalNumVgprs: 8
; ScratchSize: 0
; MemoryBound: 0
; FloatMode: 240
; IeeeMode: 1
; LDSByteSize: 0 bytes/workgroup (compile time only)
; SGPRBlocks: 2
; VGPRBlocks: 0
; NumSGPRsForWavesPerEU: 24
; NumVGPRsForWavesPerEU: 8
; AccumOffset: 8
; Occupancy: 8
; WaveLimiterHint : 1
; COMPUTE_PGM_RSRC2:SCRATCH_EN: 0
; COMPUTE_PGM_RSRC2:USER_SGPR: 2
; COMPUTE_PGM_RSRC2:TRAP_HANDLER: 0
; COMPUTE_PGM_RSRC2:TGID_X_EN: 1
; COMPUTE_PGM_RSRC2:TGID_Y_EN: 0
; COMPUTE_PGM_RSRC2:TGID_Z_EN: 1
; COMPUTE_PGM_RSRC2:TIDIG_COMP_CNT: 0
; COMPUTE_PGM_RSRC3_GFX90A:ACCUM_OFFSET: 1
; COMPUTE_PGM_RSRC3_GFX90A:TG_SPLIT: 0
	.section	.text._ZL20rocblas_tbmvx_kernelILi64ELi16EPKPK19rocblas_complex_numIfEPKPS1_Ev18rocblas_operation_bbiiT1_lllSA_T2_llli,"axG",@progbits,_ZL20rocblas_tbmvx_kernelILi64ELi16EPKPK19rocblas_complex_numIfEPKPS1_Ev18rocblas_operation_bbiiT1_lllSA_T2_llli,comdat
	.globl	_ZL20rocblas_tbmvx_kernelILi64ELi16EPKPK19rocblas_complex_numIfEPKPS1_Ev18rocblas_operation_bbiiT1_lllSA_T2_llli ; -- Begin function _ZL20rocblas_tbmvx_kernelILi64ELi16EPKPK19rocblas_complex_numIfEPKPS1_Ev18rocblas_operation_bbiiT1_lllSA_T2_llli
	.p2align	8
	.type	_ZL20rocblas_tbmvx_kernelILi64ELi16EPKPK19rocblas_complex_numIfEPKPS1_Ev18rocblas_operation_bbiiT1_lllSA_T2_llli,@function
_ZL20rocblas_tbmvx_kernelILi64ELi16EPKPK19rocblas_complex_numIfEPKPS1_Ev18rocblas_operation_bbiiT1_lllSA_T2_llli: ; @_ZL20rocblas_tbmvx_kernelILi64ELi16EPKPK19rocblas_complex_numIfEPKPS1_Ev18rocblas_operation_bbiiT1_lllSA_T2_llli
; %bb.0:
	s_load_dwordx2 s[4:5], s[0:1], 0x6c
	s_mov_b32 s26, s3
	s_waitcnt lgkmcnt(0)
	s_lshr_b32 s6, s4, 16
	s_and_b32 s3, s4, 0xffff
	s_and_b32 s5, s5, 0xffff
	s_mul_i32 s4, s6, s3
	s_mul_i32 s4, s4, s5
	s_cmpk_lg_i32 s4, 0x400
	s_cbranch_scc1 .LBB22_76
; %bb.1:
	s_load_dwordx2 s[34:35], s[0:1], 0x0
	s_load_dwordx4 s[12:15], s[0:1], 0x4
	s_load_dwordx4 s[16:19], s[0:1], 0x10
	s_load_dwordx2 s[20:21], s[0:1], 0x20
	s_load_dwordx8 s[4:11], s[0:1], 0x30
	s_waitcnt lgkmcnt(0)
	s_bitcmp1_b32 s35, 0
	s_cselect_b64 s[22:23], -1, 0
	s_bitcmp1_b32 s12, 8
	s_mov_b32 s27, 0
	s_cselect_b64 s[24:25], -1, 0
	s_lshl_b64 s[26:27], s[26:27], 3
	s_add_u32 s16, s16, s26
	s_addc_u32 s17, s17, s27
	s_add_u32 s4, s4, s26
	s_addc_u32 s5, s5, s27
	s_add_u32 s6, s6, s26
	s_addc_u32 s7, s7, s27
	s_load_dwordx2 s[16:17], s[16:17], 0x0
	v_and_b32_e32 v1, 0x3ff, v0
	s_load_dwordx2 s[4:5], s[4:5], 0x0
	v_bfe_u32 v0, v0, 10, 10
	s_load_dwordx2 s[6:7], s[6:7], 0x0
	v_mad_u32_u24 v13, v0, s3, v1
	v_and_b32_e32 v17, 63, v13
	s_lshl_b32 s12, s2, 6
	s_mov_b64 s[0:1], -1
	v_lshrrev_b32_e32 v0, 6, v13
	s_cmpk_lg_i32 s34, 0x6f
	v_or_b32_e32 v4, s12, v17
                                        ; implicit-def: $vgpr2_vgpr3
	s_cbranch_scc0 .LBB22_48
; %bb.2:
	v_mov_b32_e32 v7, 0
	v_mov_b32_e32 v1, v7
	v_cmp_gt_i64_e32 vcc, s[20:21], v[0:1]
	v_cmp_ge_i32_e64 s[0:1], s14, v0
	v_mov_b32_e32 v6, v7
	s_and_b64 s[0:1], s[0:1], vcc
	v_mov_b64_e32 v[2:3], v[6:7]
	s_and_saveexec_b64 s[26:27], s[0:1]
	s_cbranch_execz .LBB22_47
; %bb.3:
	s_xor_b64 s[28:29], s[22:23], -1
	s_xor_b64 s[30:31], s[24:25], -1
	s_cmpk_lg_i32 s34, 0x71
	s_cselect_b64 s[34:35], -1, 0
	s_lshl_b64 s[2:3], s[18:19], 3
	v_ashrrev_i32_e32 v5, 31, v4
	s_waitcnt lgkmcnt(0)
	s_add_u32 s36, s16, s2
	v_mul_lo_u32 v6, s21, v4
	v_mul_lo_u32 v8, s20, v5
	v_mad_u64_u32 v[2:3], s[38:39], s20, v4, 0
	s_addc_u32 s37, s17, s3
	v_add3_u32 v3, v3, v8, v6
	v_add_u32_e32 v12, s12, v17
	v_lshl_add_u64 v[8:9], v[2:3], 3, s[36:37]
	v_ashrrev_i32_e32 v2, 31, v12
	v_mul_lo_u32 v6, s20, v2
	v_mul_lo_u32 v14, s21, v12
	v_mad_u64_u32 v[2:3], s[36:37], s20, v12, 0
	v_add3_u32 v3, v3, v6, v14
	v_lshl_add_u64 v[2:3], v[2:3], 3, s[2:3]
	v_lshlrev_b32_e32 v6, 3, v0
	v_lshl_add_u64 v[2:3], v[2:3], 0, v[6:7]
	v_mov_b32_e32 v6, v7
	v_cmp_gt_i32_e64 s[0:1], s13, v4
	v_xad_u32 v22, v4, -1, s13
	v_lshl_add_u64 v[10:11], v[4:5], 3, s[4:5]
	v_sub_u32_e32 v5, s14, v4
	v_lshl_add_u64 v[14:15], s[16:17], 0, v[2:3]
	v_subrev_u32_e32 v16, s14, v12
	s_mov_b64 s[36:37], 0
	s_mov_b64 s[38:39], 0x80
	v_mov_b64_e32 v[18:19], v[0:1]
	v_mov_b64_e32 v[2:3], v[6:7]
	s_branch .LBB22_9
.LBB22_4:                               ;   in Loop: Header=BB22_9 Depth=1
	v_mov_b64_e32 v[2:3], v[20:21]
.LBB22_5:                               ;   in Loop: Header=BB22_9 Depth=1
	s_or_b64 exec, exec, s[42:43]
.LBB22_6:                               ;   in Loop: Header=BB22_9 Depth=1
	s_or_b64 exec, exec, s[2:3]
	v_mov_b64_e32 v[20:21], v[2:3]
.LBB22_7:                               ;   in Loop: Header=BB22_9 Depth=1
	v_mov_b64_e32 v[2:3], v[20:21]
.LBB22_8:                               ;   in Loop: Header=BB22_9 Depth=1
	s_or_b64 exec, exec, s[40:41]
	v_lshl_add_u64 v[18:19], v[18:19], 0, 16
	v_mov_b32_e32 v6, v18
	v_cmp_le_u64_e32 vcc, s[20:21], v[6:7]
	v_cmp_lt_i32_e64 s[2:3], s14, v18
	s_or_b64 s[2:3], s[2:3], vcc
	s_and_b64 s[2:3], exec, s[2:3]
	s_or_b64 s[36:37], s[2:3], s[36:37]
	v_lshl_add_u64 v[14:15], v[14:15], 0, s[38:39]
	s_andn2_b64 exec, exec, s[36:37]
	s_cbranch_execz .LBB22_46
.LBB22_9:                               ; =>This Inner Loop Header: Depth=1
	s_and_saveexec_b64 s[40:41], s[0:1]
	s_cbranch_execz .LBB22_8
; %bb.10:                               ;   in Loop: Header=BB22_9 Depth=1
	s_mov_b64 s[2:3], -1
	s_and_b64 vcc, exec, s[28:29]
                                        ; implicit-def: $vgpr20_vgpr21
	s_cbranch_vccz .LBB22_29
; %bb.11:                               ;   in Loop: Header=BB22_9 Depth=1
	v_cmp_lt_i32_e32 vcc, v22, v18
	v_cmp_eq_u64_e64 s[2:3], 0, v[18:19]
	s_or_b64 s[2:3], s[2:3], vcc
                                        ; implicit-def: $vgpr20_vgpr21
	s_and_saveexec_b64 s[42:43], s[2:3]
	s_xor_b64 s[2:3], exec, s[42:43]
	s_cbranch_execz .LBB22_22
; %bb.12:                               ;   in Loop: Header=BB22_9 Depth=1
	v_cmp_eq_u64_e32 vcc, 0, v[18:19]
	v_mov_b64_e32 v[20:21], v[2:3]
	s_and_saveexec_b64 s[42:43], vcc
	s_cbranch_execz .LBB22_21
; %bb.13:                               ;   in Loop: Header=BB22_9 Depth=1
	s_mov_b64 s[44:45], -1
	s_and_b64 vcc, exec, s[30:31]
                                        ; implicit-def: $vgpr20_vgpr21
	s_cbranch_vccz .LBB22_19
; %bb.14:                               ;   in Loop: Header=BB22_9 Depth=1
	s_and_b64 vcc, exec, s[34:35]
                                        ; implicit-def: $vgpr20
                                        ; implicit-def: $vgpr6
	s_cbranch_vccz .LBB22_16
; %bb.15:                               ;   in Loop: Header=BB22_9 Depth=1
	flat_load_dwordx2 v[20:21], v[8:9]
	s_mov_b64 s[44:45], 0
	s_waitcnt vmcnt(0) lgkmcnt(0)
	v_mov_b32_e32 v6, v21
.LBB22_16:                              ;   in Loop: Header=BB22_9 Depth=1
	s_andn2_b64 vcc, exec, s[44:45]
	s_cbranch_vccnz .LBB22_18
; %bb.17:                               ;   in Loop: Header=BB22_9 Depth=1
	flat_load_dwordx2 v[20:21], v[8:9]
	s_waitcnt vmcnt(0) lgkmcnt(0)
	v_xor_b32_e32 v6, 0x80000000, v21
.LBB22_18:                              ;   in Loop: Header=BB22_9 Depth=1
	flat_load_dwordx2 v[24:25], v[10:11]
	s_mov_b64 s[44:45], 0
	s_waitcnt vmcnt(0) lgkmcnt(0)
	v_pk_mul_f32 v[26:27], v[6:7], v[24:25] op_sel:[0,1] op_sel_hi:[0,0]
	v_pk_fma_f32 v[28:29], v[24:25], v[20:21], v[26:27] neg_lo:[0,0,1] neg_hi:[0,0,1]
	v_pk_fma_f32 v[20:21], v[24:25], v[20:21], v[26:27] op_sel_hi:[1,0,1]
	s_nop 0
	v_mov_b32_e32 v29, v21
	v_pk_add_f32 v[20:21], v[2:3], v[28:29]
.LBB22_19:                              ;   in Loop: Header=BB22_9 Depth=1
	s_and_b64 vcc, exec, s[44:45]
	s_cbranch_vccz .LBB22_21
; %bb.20:                               ;   in Loop: Header=BB22_9 Depth=1
	flat_load_dwordx2 v[20:21], v[10:11]
	s_waitcnt vmcnt(0) lgkmcnt(0)
	v_pk_add_f32 v[20:21], v[2:3], v[20:21]
.LBB22_21:                              ;   in Loop: Header=BB22_9 Depth=1
	s_or_b64 exec, exec, s[42:43]
.LBB22_22:                              ;   in Loop: Header=BB22_9 Depth=1
	s_andn2_saveexec_b64 s[2:3], s[2:3]
	s_cbranch_execz .LBB22_28
; %bb.23:                               ;   in Loop: Header=BB22_9 Depth=1
	s_mov_b64 s[42:43], -1
	s_and_b64 vcc, exec, s[34:35]
                                        ; implicit-def: $vgpr20
                                        ; implicit-def: $vgpr6
	s_cbranch_vccz .LBB22_25
; %bb.24:                               ;   in Loop: Header=BB22_9 Depth=1
	flat_load_dwordx2 v[20:21], v[14:15]
	s_mov_b64 s[42:43], 0
	s_waitcnt vmcnt(0) lgkmcnt(0)
	v_mov_b32_e32 v6, v21
.LBB22_25:                              ;   in Loop: Header=BB22_9 Depth=1
	s_andn2_b64 vcc, exec, s[42:43]
	s_cbranch_vccnz .LBB22_27
; %bb.26:                               ;   in Loop: Header=BB22_9 Depth=1
	flat_load_dwordx2 v[20:21], v[14:15]
	s_waitcnt vmcnt(0) lgkmcnt(0)
	v_xor_b32_e32 v6, 0x80000000, v21
.LBB22_27:                              ;   in Loop: Header=BB22_9 Depth=1
	v_add_u32_e32 v24, v12, v18
	v_ashrrev_i32_e32 v25, 31, v24
	v_lshl_add_u64 v[24:25], v[24:25], 3, s[4:5]
	flat_load_dwordx2 v[24:25], v[24:25]
	s_waitcnt vmcnt(0) lgkmcnt(0)
	v_pk_mul_f32 v[26:27], v[6:7], v[24:25] op_sel:[0,1] op_sel_hi:[0,0]
	v_pk_fma_f32 v[28:29], v[24:25], v[20:21], v[26:27] neg_lo:[0,0,1] neg_hi:[0,0,1]
	v_pk_fma_f32 v[20:21], v[24:25], v[20:21], v[26:27] op_sel_hi:[1,0,1]
	s_nop 0
	v_mov_b32_e32 v29, v21
	v_pk_add_f32 v[20:21], v[2:3], v[28:29]
.LBB22_28:                              ;   in Loop: Header=BB22_9 Depth=1
	s_or_b64 exec, exec, s[2:3]
	s_mov_b64 s[2:3], 0
.LBB22_29:                              ;   in Loop: Header=BB22_9 Depth=1
	s_andn2_b64 vcc, exec, s[2:3]
	s_cbranch_vccnz .LBB22_7
; %bb.30:                               ;   in Loop: Header=BB22_9 Depth=1
	v_cmp_gt_i32_e32 vcc, s14, v18
	v_cmp_le_i32_e64 s[2:3], v5, v18
	s_and_b64 s[2:3], vcc, s[2:3]
	s_and_saveexec_b64 s[42:43], s[2:3]
	s_xor_b64 s[2:3], exec, s[42:43]
	s_cbranch_execz .LBB22_36
; %bb.31:                               ;   in Loop: Header=BB22_9 Depth=1
	s_mov_b64 s[42:43], -1
	s_and_b64 vcc, exec, s[34:35]
                                        ; implicit-def: $vgpr6
                                        ; implicit-def: $vgpr20
	s_cbranch_vccz .LBB22_33
; %bb.32:                               ;   in Loop: Header=BB22_9 Depth=1
	flat_load_dwordx2 v[20:21], v[14:15]
	s_mov_b64 s[42:43], 0
	s_waitcnt vmcnt(0) lgkmcnt(0)
	v_mov_b32_e32 v6, v21
.LBB22_33:                              ;   in Loop: Header=BB22_9 Depth=1
	s_andn2_b64 vcc, exec, s[42:43]
	s_cbranch_vccnz .LBB22_35
; %bb.34:                               ;   in Loop: Header=BB22_9 Depth=1
	flat_load_dwordx2 v[20:21], v[14:15]
	s_waitcnt vmcnt(0) lgkmcnt(0)
	v_xor_b32_e32 v6, 0x80000000, v21
.LBB22_35:                              ;   in Loop: Header=BB22_9 Depth=1
	v_add_u32_e32 v24, v16, v18
	v_ashrrev_i32_e32 v25, 31, v24
	v_lshl_add_u64 v[24:25], v[24:25], 3, s[4:5]
	flat_load_dwordx2 v[24:25], v[24:25]
	s_waitcnt vmcnt(0) lgkmcnt(0)
	v_pk_mul_f32 v[26:27], v[6:7], v[24:25] op_sel:[0,1] op_sel_hi:[0,0]
	v_pk_fma_f32 v[28:29], v[24:25], v[20:21], v[26:27] neg_lo:[0,0,1] neg_hi:[0,0,1]
	v_pk_fma_f32 v[20:21], v[24:25], v[20:21], v[26:27] op_sel_hi:[1,0,1]
	s_nop 0
	v_mov_b32_e32 v29, v21
	v_pk_add_f32 v[2:3], v[2:3], v[28:29]
.LBB22_36:                              ;   in Loop: Header=BB22_9 Depth=1
	s_andn2_saveexec_b64 s[2:3], s[2:3]
	s_cbranch_execz .LBB22_6
; %bb.37:                               ;   in Loop: Header=BB22_9 Depth=1
	v_cmp_eq_u32_e32 vcc, s14, v18
	s_and_saveexec_b64 s[42:43], vcc
	s_cbranch_execz .LBB22_5
; %bb.38:                               ;   in Loop: Header=BB22_9 Depth=1
	s_mov_b64 s[44:45], -1
	s_and_b64 vcc, exec, s[30:31]
                                        ; implicit-def: $vgpr20_vgpr21
	s_cbranch_vccz .LBB22_44
; %bb.39:                               ;   in Loop: Header=BB22_9 Depth=1
	s_and_b64 vcc, exec, s[34:35]
                                        ; implicit-def: $vgpr20
                                        ; implicit-def: $vgpr6
	s_cbranch_vccz .LBB22_41
; %bb.40:                               ;   in Loop: Header=BB22_9 Depth=1
	flat_load_dwordx2 v[20:21], v[14:15]
	s_mov_b64 s[44:45], 0
	s_waitcnt vmcnt(0) lgkmcnt(0)
	v_mov_b32_e32 v6, v21
.LBB22_41:                              ;   in Loop: Header=BB22_9 Depth=1
	s_andn2_b64 vcc, exec, s[44:45]
	s_cbranch_vccnz .LBB22_43
; %bb.42:                               ;   in Loop: Header=BB22_9 Depth=1
	flat_load_dwordx2 v[20:21], v[14:15]
	s_waitcnt vmcnt(0) lgkmcnt(0)
	v_xor_b32_e32 v6, 0x80000000, v21
.LBB22_43:                              ;   in Loop: Header=BB22_9 Depth=1
	flat_load_dwordx2 v[24:25], v[10:11]
	s_mov_b64 s[44:45], 0
	s_waitcnt vmcnt(0) lgkmcnt(0)
	v_pk_mul_f32 v[26:27], v[6:7], v[24:25] op_sel:[0,1] op_sel_hi:[0,0]
	v_pk_fma_f32 v[28:29], v[24:25], v[20:21], v[26:27] neg_lo:[0,0,1] neg_hi:[0,0,1]
	v_pk_fma_f32 v[20:21], v[24:25], v[20:21], v[26:27] op_sel_hi:[1,0,1]
	s_nop 0
	v_mov_b32_e32 v29, v21
	v_pk_add_f32 v[20:21], v[2:3], v[28:29]
.LBB22_44:                              ;   in Loop: Header=BB22_9 Depth=1
	s_and_b64 vcc, exec, s[44:45]
	s_cbranch_vccz .LBB22_4
; %bb.45:                               ;   in Loop: Header=BB22_9 Depth=1
	flat_load_dwordx2 v[20:21], v[10:11]
	s_waitcnt vmcnt(0) lgkmcnt(0)
	v_pk_add_f32 v[20:21], v[2:3], v[20:21]
	s_branch .LBB22_4
.LBB22_46:
	s_or_b64 exec, exec, s[36:37]
.LBB22_47:
	s_or_b64 exec, exec, s[26:27]
	s_mov_b64 s[0:1], 0
.LBB22_48:
	s_andn2_b64 vcc, exec, s[0:1]
	s_cbranch_vccnz .LBB22_74
; %bb.49:
	v_mov_b32_e32 v7, 0
	v_mov_b32_e32 v6, v7
	v_cmp_gt_i32_e32 vcc, s13, v0
	v_mov_b64_e32 v[2:3], v[6:7]
	s_and_saveexec_b64 s[26:27], vcc
	s_cbranch_execz .LBB22_73
; %bb.50:
	s_and_b64 s[0:1], s[22:23], exec
	s_cselect_b32 s30, s14, 0
	s_and_b64 s[2:3], s[22:23], s[24:25]
	s_xor_b64 s[28:29], s[2:3], -1
	s_xor_b64 s[2:3], s[24:25], -1
	v_lshlrev_b32_e32 v6, 3, v0
	v_cmp_gt_i32_e64 s[0:1], s13, v4
	s_cmp_lg_u32 s14, 0
	s_waitcnt lgkmcnt(0)
	v_lshl_add_u64 v[4:5], s[4:5], 0, v[6:7]
	v_mad_u64_u32 v[2:3], s[4:5], s20, v0, 0
	s_cselect_b64 s[24:25], -1, 0
	v_mov_b32_e32 v6, v3
	s_and_b64 s[22:23], s[22:23], s[24:25]
	v_mad_u64_u32 v[8:9], s[4:5], s21, v0, v[6:7]
	s_nor_b64 s[2:3], s[22:23], s[2:3]
	s_ashr_i32 s15, s14, 31
	s_lshl_b64 s[4:5], s[18:19], 3
	s_add_u32 s4, s16, s4
	s_addc_u32 s5, s17, s5
	s_add_i32 s30, s30, s12
	v_add_u32_e32 v1, s30, v17
	v_mov_b32_e32 v3, v8
	v_sub_u32_e32 v6, v1, v0
	v_cndmask_b32_e64 v1, 0, 1, s[2:3]
	v_lshl_add_u64 v[8:9], v[2:3], 3, s[4:5]
	s_lshl_b64 s[16:17], s[20:21], 7
	s_lshl_b64 s[18:19], s[14:15], 3
	v_mov_b32_e32 v2, v7
	v_mov_b32_e32 v3, v7
	s_mov_b64 s[20:21], 0
	v_cmp_ne_u32_e64 s[2:3], 1, v1
	s_mov_b64 s[22:23], 0x80
	s_branch .LBB22_53
.LBB22_51:                              ;   in Loop: Header=BB22_53 Depth=1
	s_or_b64 exec, exec, s[4:5]
.LBB22_52:                              ;   in Loop: Header=BB22_53 Depth=1
	s_or_b64 exec, exec, s[24:25]
	v_add_u32_e32 v0, 16, v0
	v_cmp_le_i32_e32 vcc, s13, v0
	v_lshl_add_u64 v[4:5], v[4:5], 0, s[22:23]
	v_lshl_add_u64 v[8:9], v[8:9], 0, s[16:17]
	s_or_b64 s[20:21], vcc, s[20:21]
	v_add_u32_e32 v6, -16, v6
	s_andn2_b64 exec, exec, s[20:21]
	s_cbranch_execz .LBB22_72
.LBB22_53:                              ; =>This Inner Loop Header: Depth=1
	s_and_saveexec_b64 s[24:25], s[0:1]
	s_cbranch_execz .LBB22_52
; %bb.54:                               ;   in Loop: Header=BB22_53 Depth=1
	v_cmp_le_i32_e32 vcc, s14, v6
	v_cmp_gt_i32_e64 s[4:5], 1, v6
	s_or_b64 s[4:5], vcc, s[4:5]
	s_and_saveexec_b64 s[30:31], s[4:5]
	s_xor_b64 s[4:5], exec, s[30:31]
	s_cbranch_execz .LBB22_70
; %bb.55:                               ;   in Loop: Header=BB22_53 Depth=1
	v_cmp_ne_u32_e32 vcc, 0, v6
	s_and_saveexec_b64 s[30:31], vcc
	s_xor_b64 s[30:31], exec, s[30:31]
	s_cbranch_execz .LBB22_63
; %bb.56:                               ;   in Loop: Header=BB22_53 Depth=1
	v_cmp_eq_u32_e32 vcc, s14, v6
	s_and_saveexec_b64 s[34:35], vcc
	s_cbranch_execz .LBB22_62
; %bb.57:                               ;   in Loop: Header=BB22_53 Depth=1
	s_mov_b64 s[36:37], -1
	s_and_b64 vcc, exec, s[28:29]
                                        ; implicit-def: $vgpr10_vgpr11
	s_cbranch_vccz .LBB22_59
; %bb.58:                               ;   in Loop: Header=BB22_53 Depth=1
	v_lshl_add_u64 v[10:11], v[8:9], 0, s[18:19]
	flat_load_dwordx2 v[14:15], v[4:5]
	flat_load_dwordx2 v[16:17], v[10:11]
	s_mov_b64 s[36:37], 0
	s_waitcnt vmcnt(0) lgkmcnt(0)
	v_pk_mul_f32 v[10:11], v[14:15], v[16:17] op_sel:[1,1] op_sel_hi:[0,1]
	v_pk_fma_f32 v[18:19], v[14:15], v[16:17], v[10:11] neg_lo:[0,0,1] neg_hi:[0,0,1]
	v_pk_fma_f32 v[10:11], v[14:15], v[16:17], v[10:11] op_sel_hi:[1,0,1]
	s_nop 0
	v_mov_b32_e32 v19, v11
	v_pk_add_f32 v[10:11], v[2:3], v[18:19]
.LBB22_59:                              ;   in Loop: Header=BB22_53 Depth=1
	s_andn2_b64 vcc, exec, s[36:37]
	s_cbranch_vccnz .LBB22_61
; %bb.60:                               ;   in Loop: Header=BB22_53 Depth=1
	flat_load_dwordx2 v[10:11], v[4:5]
	s_waitcnt vmcnt(0) lgkmcnt(0)
	v_pk_add_f32 v[10:11], v[2:3], v[10:11]
.LBB22_61:                              ;   in Loop: Header=BB22_53 Depth=1
	s_nop 0
	v_mov_b64_e32 v[2:3], v[10:11]
.LBB22_62:                              ;   in Loop: Header=BB22_53 Depth=1
	s_or_b64 exec, exec, s[34:35]
.LBB22_63:                              ;   in Loop: Header=BB22_53 Depth=1
	s_andn2_saveexec_b64 s[30:31], s[30:31]
	s_cbranch_execz .LBB22_69
; %bb.64:                               ;   in Loop: Header=BB22_53 Depth=1
	s_and_b64 vcc, exec, s[2:3]
	s_mov_b64 s[34:35], -1
                                        ; implicit-def: $vgpr10_vgpr11
	s_cbranch_vccnz .LBB22_66
; %bb.65:                               ;   in Loop: Header=BB22_53 Depth=1
	flat_load_dwordx2 v[10:11], v[4:5]
	s_mov_b64 s[34:35], 0
	s_waitcnt vmcnt(0) lgkmcnt(0)
	v_pk_add_f32 v[10:11], v[2:3], v[10:11]
.LBB22_66:                              ;   in Loop: Header=BB22_53 Depth=1
	s_andn2_b64 vcc, exec, s[34:35]
	s_cbranch_vccnz .LBB22_68
; %bb.67:                               ;   in Loop: Header=BB22_53 Depth=1
	flat_load_dwordx2 v[10:11], v[8:9]
	flat_load_dwordx2 v[14:15], v[4:5]
	s_waitcnt vmcnt(0) lgkmcnt(0)
	v_pk_mul_f32 v[16:17], v[14:15], v[10:11] op_sel:[1,1] op_sel_hi:[0,1]
	v_pk_fma_f32 v[18:19], v[14:15], v[10:11], v[16:17] neg_lo:[0,0,1] neg_hi:[0,0,1]
	v_pk_fma_f32 v[10:11], v[14:15], v[10:11], v[16:17] op_sel_hi:[1,0,1]
	s_nop 0
	v_mov_b32_e32 v19, v11
	v_pk_add_f32 v[10:11], v[2:3], v[18:19]
.LBB22_68:                              ;   in Loop: Header=BB22_53 Depth=1
	s_nop 0
	v_mov_b64_e32 v[2:3], v[10:11]
.LBB22_69:                              ;   in Loop: Header=BB22_53 Depth=1
	s_or_b64 exec, exec, s[30:31]
.LBB22_70:                              ;   in Loop: Header=BB22_53 Depth=1
	s_andn2_saveexec_b64 s[4:5], s[4:5]
	s_cbranch_execz .LBB22_51
; %bb.71:                               ;   in Loop: Header=BB22_53 Depth=1
	v_lshl_add_u64 v[10:11], v[6:7], 3, v[8:9]
	flat_load_dwordx2 v[14:15], v[4:5]
	flat_load_dwordx2 v[16:17], v[10:11]
	s_waitcnt vmcnt(0) lgkmcnt(0)
	v_pk_mul_f32 v[10:11], v[14:15], v[16:17] op_sel:[1,1] op_sel_hi:[0,1]
	v_pk_fma_f32 v[18:19], v[14:15], v[16:17], v[10:11] neg_lo:[0,0,1] neg_hi:[0,0,1]
	v_pk_fma_f32 v[10:11], v[14:15], v[16:17], v[10:11] op_sel_hi:[1,0,1]
	s_nop 0
	v_mov_b32_e32 v19, v11
	v_pk_add_f32 v[2:3], v[2:3], v[18:19]
	s_branch .LBB22_51
.LBB22_72:
	s_or_b64 exec, exec, s[20:21]
.LBB22_73:
	s_or_b64 exec, exec, s[26:27]
.LBB22_74:
	v_add_u32_e32 v1, s12, v13
	v_cmp_gt_u32_e32 vcc, 64, v13
	v_cmp_gt_i32_e64 s[0:1], s13, v1
	v_lshlrev_b32_e32 v0, 3, v13
	s_and_b64 s[0:1], vcc, s[0:1]
	ds_write_b64 v0, v[2:3]
	s_waitcnt lgkmcnt(0)
	s_barrier
	s_and_saveexec_b64 s[2:3], s[0:1]
	s_cbranch_execz .LBB22_76
; %bb.75:
	ds_read2st64_b64 v[2:5], v0 offset1:1
	ds_read2st64_b64 v[6:9], v0 offset0:2 offset1:3
	ds_read2st64_b64 v[10:13], v0 offset0:4 offset1:5
	s_lshl_b64 s[0:1], s[8:9], 3
	s_add_u32 s0, s6, s0
	s_waitcnt lgkmcnt(2)
	v_pk_add_f32 v[2:3], v[2:3], v[4:5]
	s_addc_u32 s1, s7, s1
	s_waitcnt lgkmcnt(1)
	v_pk_add_f32 v[6:7], v[2:3], v[6:7]
	ds_read2st64_b64 v[2:5], v0 offset0:6 offset1:7
	v_pk_add_f32 v[6:7], v[6:7], v[8:9]
	s_waitcnt lgkmcnt(1)
	v_pk_add_f32 v[10:11], v[6:7], v[10:11]
	ds_read2st64_b64 v[6:9], v0 offset0:8 offset1:9
	v_pk_add_f32 v[10:11], v[10:11], v[12:13]
	s_waitcnt lgkmcnt(1)
	v_pk_add_f32 v[2:3], v[10:11], v[2:3]
	s_nop 0
	v_pk_add_f32 v[10:11], v[2:3], v[4:5]
	ds_read2st64_b64 v[2:5], v0 offset0:10 offset1:11
	s_waitcnt lgkmcnt(1)
	v_pk_add_f32 v[6:7], v[10:11], v[6:7]
	ds_read2st64_b64 v[10:13], v0 offset0:12 offset1:13
	v_pk_add_f32 v[14:15], v[6:7], v[8:9]
	ds_read2st64_b64 v[6:9], v0 offset0:14 offset1:15
	s_waitcnt lgkmcnt(2)
	v_pk_add_f32 v[2:3], v[14:15], v[2:3]
	s_nop 0
	v_pk_add_f32 v[2:3], v[2:3], v[4:5]
	v_mul_lo_u32 v4, s11, v1
	s_waitcnt lgkmcnt(1)
	v_pk_add_f32 v[2:3], v[2:3], v[10:11]
	s_nop 0
	v_pk_add_f32 v[2:3], v[2:3], v[12:13]
	s_waitcnt lgkmcnt(0)
	v_pk_add_f32 v[2:3], v[2:3], v[6:7]
	s_nop 0
	v_pk_add_f32 v[2:3], v[2:3], v[8:9]
	ds_write_b64 v0, v[2:3]
	v_ashrrev_i32_e32 v0, 31, v1
	v_mul_lo_u32 v5, s10, v0
	v_mad_u64_u32 v[0:1], s[2:3], s10, v1, 0
	v_add3_u32 v1, v1, v5, v4
	v_lshl_add_u64 v[0:1], v[0:1], 3, s[0:1]
	flat_store_dwordx2 v[0:1], v[2:3]
.LBB22_76:
	s_endpgm
	.section	.rodata,"a",@progbits
	.p2align	6, 0x0
	.amdhsa_kernel _ZL20rocblas_tbmvx_kernelILi64ELi16EPKPK19rocblas_complex_numIfEPKPS1_Ev18rocblas_operation_bbiiT1_lllSA_T2_llli
		.amdhsa_group_segment_fixed_size 8192
		.amdhsa_private_segment_fixed_size 0
		.amdhsa_kernarg_size 352
		.amdhsa_user_sgpr_count 2
		.amdhsa_user_sgpr_dispatch_ptr 0
		.amdhsa_user_sgpr_queue_ptr 0
		.amdhsa_user_sgpr_kernarg_segment_ptr 1
		.amdhsa_user_sgpr_dispatch_id 0
		.amdhsa_user_sgpr_kernarg_preload_length 0
		.amdhsa_user_sgpr_kernarg_preload_offset 0
		.amdhsa_user_sgpr_private_segment_size 0
		.amdhsa_uses_dynamic_stack 0
		.amdhsa_enable_private_segment 0
		.amdhsa_system_sgpr_workgroup_id_x 1
		.amdhsa_system_sgpr_workgroup_id_y 0
		.amdhsa_system_sgpr_workgroup_id_z 1
		.amdhsa_system_sgpr_workgroup_info 0
		.amdhsa_system_vgpr_workitem_id 1
		.amdhsa_next_free_vgpr 30
		.amdhsa_next_free_sgpr 46
		.amdhsa_accum_offset 32
		.amdhsa_reserve_vcc 1
		.amdhsa_float_round_mode_32 0
		.amdhsa_float_round_mode_16_64 0
		.amdhsa_float_denorm_mode_32 3
		.amdhsa_float_denorm_mode_16_64 3
		.amdhsa_dx10_clamp 1
		.amdhsa_ieee_mode 1
		.amdhsa_fp16_overflow 0
		.amdhsa_tg_split 0
		.amdhsa_exception_fp_ieee_invalid_op 0
		.amdhsa_exception_fp_denorm_src 0
		.amdhsa_exception_fp_ieee_div_zero 0
		.amdhsa_exception_fp_ieee_overflow 0
		.amdhsa_exception_fp_ieee_underflow 0
		.amdhsa_exception_fp_ieee_inexact 0
		.amdhsa_exception_int_div_zero 0
	.end_amdhsa_kernel
	.section	.text._ZL20rocblas_tbmvx_kernelILi64ELi16EPKPK19rocblas_complex_numIfEPKPS1_Ev18rocblas_operation_bbiiT1_lllSA_T2_llli,"axG",@progbits,_ZL20rocblas_tbmvx_kernelILi64ELi16EPKPK19rocblas_complex_numIfEPKPS1_Ev18rocblas_operation_bbiiT1_lllSA_T2_llli,comdat
.Lfunc_end22:
	.size	_ZL20rocblas_tbmvx_kernelILi64ELi16EPKPK19rocblas_complex_numIfEPKPS1_Ev18rocblas_operation_bbiiT1_lllSA_T2_llli, .Lfunc_end22-_ZL20rocblas_tbmvx_kernelILi64ELi16EPKPK19rocblas_complex_numIfEPKPS1_Ev18rocblas_operation_bbiiT1_lllSA_T2_llli
                                        ; -- End function
	.set _ZL20rocblas_tbmvx_kernelILi64ELi16EPKPK19rocblas_complex_numIfEPKPS1_Ev18rocblas_operation_bbiiT1_lllSA_T2_llli.num_vgpr, 30
	.set _ZL20rocblas_tbmvx_kernelILi64ELi16EPKPK19rocblas_complex_numIfEPKPS1_Ev18rocblas_operation_bbiiT1_lllSA_T2_llli.num_agpr, 0
	.set _ZL20rocblas_tbmvx_kernelILi64ELi16EPKPK19rocblas_complex_numIfEPKPS1_Ev18rocblas_operation_bbiiT1_lllSA_T2_llli.numbered_sgpr, 46
	.set _ZL20rocblas_tbmvx_kernelILi64ELi16EPKPK19rocblas_complex_numIfEPKPS1_Ev18rocblas_operation_bbiiT1_lllSA_T2_llli.num_named_barrier, 0
	.set _ZL20rocblas_tbmvx_kernelILi64ELi16EPKPK19rocblas_complex_numIfEPKPS1_Ev18rocblas_operation_bbiiT1_lllSA_T2_llli.private_seg_size, 0
	.set _ZL20rocblas_tbmvx_kernelILi64ELi16EPKPK19rocblas_complex_numIfEPKPS1_Ev18rocblas_operation_bbiiT1_lllSA_T2_llli.uses_vcc, 1
	.set _ZL20rocblas_tbmvx_kernelILi64ELi16EPKPK19rocblas_complex_numIfEPKPS1_Ev18rocblas_operation_bbiiT1_lllSA_T2_llli.uses_flat_scratch, 0
	.set _ZL20rocblas_tbmvx_kernelILi64ELi16EPKPK19rocblas_complex_numIfEPKPS1_Ev18rocblas_operation_bbiiT1_lllSA_T2_llli.has_dyn_sized_stack, 0
	.set _ZL20rocblas_tbmvx_kernelILi64ELi16EPKPK19rocblas_complex_numIfEPKPS1_Ev18rocblas_operation_bbiiT1_lllSA_T2_llli.has_recursion, 0
	.set _ZL20rocblas_tbmvx_kernelILi64ELi16EPKPK19rocblas_complex_numIfEPKPS1_Ev18rocblas_operation_bbiiT1_lllSA_T2_llli.has_indirect_call, 0
	.section	.AMDGPU.csdata,"",@progbits
; Kernel info:
; codeLenInByte = 2260
; TotalNumSgprs: 52
; NumVgprs: 30
; NumAgprs: 0
; TotalNumVgprs: 30
; ScratchSize: 0
; MemoryBound: 1
; FloatMode: 240
; IeeeMode: 1
; LDSByteSize: 8192 bytes/workgroup (compile time only)
; SGPRBlocks: 6
; VGPRBlocks: 3
; NumSGPRsForWavesPerEU: 52
; NumVGPRsForWavesPerEU: 30
; AccumOffset: 32
; Occupancy: 8
; WaveLimiterHint : 1
; COMPUTE_PGM_RSRC2:SCRATCH_EN: 0
; COMPUTE_PGM_RSRC2:USER_SGPR: 2
; COMPUTE_PGM_RSRC2:TRAP_HANDLER: 0
; COMPUTE_PGM_RSRC2:TGID_X_EN: 1
; COMPUTE_PGM_RSRC2:TGID_Y_EN: 0
; COMPUTE_PGM_RSRC2:TGID_Z_EN: 1
; COMPUTE_PGM_RSRC2:TIDIG_COMP_CNT: 1
; COMPUTE_PGM_RSRC3_GFX90A:ACCUM_OFFSET: 7
; COMPUTE_PGM_RSRC3_GFX90A:TG_SPLIT: 0
	.section	.text._ZL19rocblas_copy_kernelIlLi256EPKP19rocblas_complex_numIdES4_EviT1_lT_lT2_lS6_li,"axG",@progbits,_ZL19rocblas_copy_kernelIlLi256EPKP19rocblas_complex_numIdES4_EviT1_lT_lT2_lS6_li,comdat
	.globl	_ZL19rocblas_copy_kernelIlLi256EPKP19rocblas_complex_numIdES4_EviT1_lT_lT2_lS6_li ; -- Begin function _ZL19rocblas_copy_kernelIlLi256EPKP19rocblas_complex_numIdES4_EviT1_lT_lT2_lS6_li
	.p2align	8
	.type	_ZL19rocblas_copy_kernelIlLi256EPKP19rocblas_complex_numIdES4_EviT1_lT_lT2_lS6_li,@function
_ZL19rocblas_copy_kernelIlLi256EPKP19rocblas_complex_numIdES4_EviT1_lT_lT2_lS6_li: ; @_ZL19rocblas_copy_kernelIlLi256EPKP19rocblas_complex_numIdES4_EviT1_lT_lT2_lS6_li
; %bb.0:
	s_load_dword s6, s[0:1], 0x0
	v_lshl_or_b32 v0, s2, 8, v0
	v_mov_b32_e32 v1, 0
	s_mov_b32 s4, s3
	s_waitcnt lgkmcnt(0)
	s_ashr_i32 s7, s6, 31
	v_cmp_gt_i64_e32 vcc, s[6:7], v[0:1]
	s_and_saveexec_b64 s[2:3], vcc
	s_cbranch_execz .LBB23_2
; %bb.1:
	s_load_dwordx4 s[8:11], s[0:1], 0x28
	s_load_dwordx2 s[2:3], s[0:1], 0x18
	s_load_dwordx2 s[12:13], s[0:1], 0x38
	s_mov_b32 s5, 0
	s_lshl_b64 s[14:15], s[4:5], 3
	s_waitcnt lgkmcnt(0)
	s_add_u32 s8, s8, s14
	s_addc_u32 s9, s9, s15
	s_load_dwordx2 s[16:17], s[8:9], 0x0
	s_load_dwordx4 s[4:7], s[0:1], 0x8
	v_mad_u64_u32 v[2:3], s[0:1], s2, v0, 0
	s_lshl_b64 s[0:1], s[10:11], 4
	s_waitcnt lgkmcnt(0)
	s_add_u32 s0, s16, s0
	s_addc_u32 s1, s17, s1
	s_add_u32 s4, s4, s14
	s_addc_u32 s5, s5, s15
	s_load_dwordx2 s[4:5], s[4:5], 0x0
	v_mov_b32_e32 v4, v3
	v_mad_u64_u32 v[4:5], s[2:3], s3, v0, v[4:5]
	s_lshl_b64 s[2:3], s[6:7], 4
	s_waitcnt lgkmcnt(0)
	s_add_u32 s2, s4, s2
	s_addc_u32 s3, s5, s3
	v_mov_b32_e32 v3, v4
	v_lshl_add_u64 v[2:3], v[2:3], 4, s[2:3]
	flat_load_dwordx4 v[2:5], v[2:3]
	v_mad_u64_u32 v[6:7], s[2:3], s12, v0, 0
	v_mov_b32_e32 v8, v7
	v_mad_u64_u32 v[0:1], s[2:3], s13, v0, v[8:9]
	v_mov_b32_e32 v7, v0
	v_lshl_add_u64 v[0:1], v[6:7], 4, s[0:1]
	s_waitcnt vmcnt(0) lgkmcnt(0)
	flat_store_dwordx4 v[0:1], v[2:5]
.LBB23_2:
	s_endpgm
	.section	.rodata,"a",@progbits
	.p2align	6, 0x0
	.amdhsa_kernel _ZL19rocblas_copy_kernelIlLi256EPKP19rocblas_complex_numIdES4_EviT1_lT_lT2_lS6_li
		.amdhsa_group_segment_fixed_size 0
		.amdhsa_private_segment_fixed_size 0
		.amdhsa_kernarg_size 76
		.amdhsa_user_sgpr_count 2
		.amdhsa_user_sgpr_dispatch_ptr 0
		.amdhsa_user_sgpr_queue_ptr 0
		.amdhsa_user_sgpr_kernarg_segment_ptr 1
		.amdhsa_user_sgpr_dispatch_id 0
		.amdhsa_user_sgpr_kernarg_preload_length 0
		.amdhsa_user_sgpr_kernarg_preload_offset 0
		.amdhsa_user_sgpr_private_segment_size 0
		.amdhsa_uses_dynamic_stack 0
		.amdhsa_enable_private_segment 0
		.amdhsa_system_sgpr_workgroup_id_x 1
		.amdhsa_system_sgpr_workgroup_id_y 0
		.amdhsa_system_sgpr_workgroup_id_z 1
		.amdhsa_system_sgpr_workgroup_info 0
		.amdhsa_system_vgpr_workitem_id 0
		.amdhsa_next_free_vgpr 10
		.amdhsa_next_free_sgpr 18
		.amdhsa_accum_offset 12
		.amdhsa_reserve_vcc 1
		.amdhsa_float_round_mode_32 0
		.amdhsa_float_round_mode_16_64 0
		.amdhsa_float_denorm_mode_32 3
		.amdhsa_float_denorm_mode_16_64 3
		.amdhsa_dx10_clamp 1
		.amdhsa_ieee_mode 1
		.amdhsa_fp16_overflow 0
		.amdhsa_tg_split 0
		.amdhsa_exception_fp_ieee_invalid_op 0
		.amdhsa_exception_fp_denorm_src 0
		.amdhsa_exception_fp_ieee_div_zero 0
		.amdhsa_exception_fp_ieee_overflow 0
		.amdhsa_exception_fp_ieee_underflow 0
		.amdhsa_exception_fp_ieee_inexact 0
		.amdhsa_exception_int_div_zero 0
	.end_amdhsa_kernel
	.section	.text._ZL19rocblas_copy_kernelIlLi256EPKP19rocblas_complex_numIdES4_EviT1_lT_lT2_lS6_li,"axG",@progbits,_ZL19rocblas_copy_kernelIlLi256EPKP19rocblas_complex_numIdES4_EviT1_lT_lT2_lS6_li,comdat
.Lfunc_end23:
	.size	_ZL19rocblas_copy_kernelIlLi256EPKP19rocblas_complex_numIdES4_EviT1_lT_lT2_lS6_li, .Lfunc_end23-_ZL19rocblas_copy_kernelIlLi256EPKP19rocblas_complex_numIdES4_EviT1_lT_lT2_lS6_li
                                        ; -- End function
	.set _ZL19rocblas_copy_kernelIlLi256EPKP19rocblas_complex_numIdES4_EviT1_lT_lT2_lS6_li.num_vgpr, 10
	.set _ZL19rocblas_copy_kernelIlLi256EPKP19rocblas_complex_numIdES4_EviT1_lT_lT2_lS6_li.num_agpr, 0
	.set _ZL19rocblas_copy_kernelIlLi256EPKP19rocblas_complex_numIdES4_EviT1_lT_lT2_lS6_li.numbered_sgpr, 18
	.set _ZL19rocblas_copy_kernelIlLi256EPKP19rocblas_complex_numIdES4_EviT1_lT_lT2_lS6_li.num_named_barrier, 0
	.set _ZL19rocblas_copy_kernelIlLi256EPKP19rocblas_complex_numIdES4_EviT1_lT_lT2_lS6_li.private_seg_size, 0
	.set _ZL19rocblas_copy_kernelIlLi256EPKP19rocblas_complex_numIdES4_EviT1_lT_lT2_lS6_li.uses_vcc, 1
	.set _ZL19rocblas_copy_kernelIlLi256EPKP19rocblas_complex_numIdES4_EviT1_lT_lT2_lS6_li.uses_flat_scratch, 0
	.set _ZL19rocblas_copy_kernelIlLi256EPKP19rocblas_complex_numIdES4_EviT1_lT_lT2_lS6_li.has_dyn_sized_stack, 0
	.set _ZL19rocblas_copy_kernelIlLi256EPKP19rocblas_complex_numIdES4_EviT1_lT_lT2_lS6_li.has_recursion, 0
	.set _ZL19rocblas_copy_kernelIlLi256EPKP19rocblas_complex_numIdES4_EviT1_lT_lT2_lS6_li.has_indirect_call, 0
	.section	.AMDGPU.csdata,"",@progbits
; Kernel info:
; codeLenInByte = 240
; TotalNumSgprs: 24
; NumVgprs: 10
; NumAgprs: 0
; TotalNumVgprs: 10
; ScratchSize: 0
; MemoryBound: 0
; FloatMode: 240
; IeeeMode: 1
; LDSByteSize: 0 bytes/workgroup (compile time only)
; SGPRBlocks: 2
; VGPRBlocks: 1
; NumSGPRsForWavesPerEU: 24
; NumVGPRsForWavesPerEU: 10
; AccumOffset: 12
; Occupancy: 8
; WaveLimiterHint : 1
; COMPUTE_PGM_RSRC2:SCRATCH_EN: 0
; COMPUTE_PGM_RSRC2:USER_SGPR: 2
; COMPUTE_PGM_RSRC2:TRAP_HANDLER: 0
; COMPUTE_PGM_RSRC2:TGID_X_EN: 1
; COMPUTE_PGM_RSRC2:TGID_Y_EN: 0
; COMPUTE_PGM_RSRC2:TGID_Z_EN: 1
; COMPUTE_PGM_RSRC2:TIDIG_COMP_CNT: 0
; COMPUTE_PGM_RSRC3_GFX90A:ACCUM_OFFSET: 2
; COMPUTE_PGM_RSRC3_GFX90A:TG_SPLIT: 0
	.section	.text._ZL19rocblas_copy_kernelIiLi256EPKP19rocblas_complex_numIdES4_EviT1_lT_lT2_lS6_li,"axG",@progbits,_ZL19rocblas_copy_kernelIiLi256EPKP19rocblas_complex_numIdES4_EviT1_lT_lT2_lS6_li,comdat
	.globl	_ZL19rocblas_copy_kernelIiLi256EPKP19rocblas_complex_numIdES4_EviT1_lT_lT2_lS6_li ; -- Begin function _ZL19rocblas_copy_kernelIiLi256EPKP19rocblas_complex_numIdES4_EviT1_lT_lT2_lS6_li
	.p2align	8
	.type	_ZL19rocblas_copy_kernelIiLi256EPKP19rocblas_complex_numIdES4_EviT1_lT_lT2_lS6_li,@function
_ZL19rocblas_copy_kernelIiLi256EPKP19rocblas_complex_numIdES4_EviT1_lT_lT2_lS6_li: ; @_ZL19rocblas_copy_kernelIiLi256EPKP19rocblas_complex_numIdES4_EviT1_lT_lT2_lS6_li
; %bb.0:
	s_load_dword s6, s[0:1], 0x0
	v_lshl_or_b32 v0, s2, 8, v0
	v_mov_b32_e32 v1, 0
	s_mov_b32 s4, s3
	s_waitcnt lgkmcnt(0)
	s_ashr_i32 s7, s6, 31
	v_cmp_gt_i64_e32 vcc, s[6:7], v[0:1]
	s_and_saveexec_b64 s[2:3], vcc
	s_cbranch_execz .LBB24_2
; %bb.1:
	s_load_dword s14, s[0:1], 0x18
	s_load_dword s15, s[0:1], 0x38
	s_load_dwordx4 s[8:11], s[0:1], 0x28
	s_mov_b32 s5, 0
	s_lshl_b64 s[2:3], s[4:5], 3
	s_waitcnt lgkmcnt(0)
	s_ashr_i32 s16, s14, 31
	s_ashr_i32 s17, s15, 31
	s_add_u32 s8, s8, s2
	s_addc_u32 s9, s9, s3
	s_load_dwordx2 s[12:13], s[8:9], 0x0
	s_load_dwordx4 s[4:7], s[0:1], 0x8
	s_lshl_b64 s[0:1], s[10:11], 4
	s_waitcnt lgkmcnt(0)
	s_add_u32 s0, s12, s0
	s_addc_u32 s1, s13, s1
	s_add_u32 s2, s4, s2
	s_addc_u32 s3, s5, s3
	s_load_dwordx2 s[2:3], s[2:3], 0x0
	v_mad_u64_u32 v[2:3], s[4:5], s14, v0, 0
	s_lshl_b64 s[4:5], s[6:7], 4
	v_mov_b32_e32 v4, v3
	s_waitcnt lgkmcnt(0)
	s_add_u32 s2, s2, s4
	s_addc_u32 s3, s3, s5
	v_mad_u64_u32 v[4:5], s[4:5], s16, v0, v[4:5]
	v_mov_b32_e32 v3, v4
	v_lshl_add_u64 v[2:3], v[2:3], 4, s[2:3]
	flat_load_dwordx4 v[2:5], v[2:3]
	v_mad_u64_u32 v[6:7], s[2:3], s15, v0, 0
	v_mov_b32_e32 v8, v7
	v_mad_u64_u32 v[0:1], s[2:3], s17, v0, v[8:9]
	v_mov_b32_e32 v7, v0
	v_lshl_add_u64 v[0:1], v[6:7], 4, s[0:1]
	s_waitcnt vmcnt(0) lgkmcnt(0)
	flat_store_dwordx4 v[0:1], v[2:5]
.LBB24_2:
	s_endpgm
	.section	.rodata,"a",@progbits
	.p2align	6, 0x0
	.amdhsa_kernel _ZL19rocblas_copy_kernelIiLi256EPKP19rocblas_complex_numIdES4_EviT1_lT_lT2_lS6_li
		.amdhsa_group_segment_fixed_size 0
		.amdhsa_private_segment_fixed_size 0
		.amdhsa_kernarg_size 76
		.amdhsa_user_sgpr_count 2
		.amdhsa_user_sgpr_dispatch_ptr 0
		.amdhsa_user_sgpr_queue_ptr 0
		.amdhsa_user_sgpr_kernarg_segment_ptr 1
		.amdhsa_user_sgpr_dispatch_id 0
		.amdhsa_user_sgpr_kernarg_preload_length 0
		.amdhsa_user_sgpr_kernarg_preload_offset 0
		.amdhsa_user_sgpr_private_segment_size 0
		.amdhsa_uses_dynamic_stack 0
		.amdhsa_enable_private_segment 0
		.amdhsa_system_sgpr_workgroup_id_x 1
		.amdhsa_system_sgpr_workgroup_id_y 0
		.amdhsa_system_sgpr_workgroup_id_z 1
		.amdhsa_system_sgpr_workgroup_info 0
		.amdhsa_system_vgpr_workitem_id 0
		.amdhsa_next_free_vgpr 10
		.amdhsa_next_free_sgpr 18
		.amdhsa_accum_offset 12
		.amdhsa_reserve_vcc 1
		.amdhsa_float_round_mode_32 0
		.amdhsa_float_round_mode_16_64 0
		.amdhsa_float_denorm_mode_32 3
		.amdhsa_float_denorm_mode_16_64 3
		.amdhsa_dx10_clamp 1
		.amdhsa_ieee_mode 1
		.amdhsa_fp16_overflow 0
		.amdhsa_tg_split 0
		.amdhsa_exception_fp_ieee_invalid_op 0
		.amdhsa_exception_fp_denorm_src 0
		.amdhsa_exception_fp_ieee_div_zero 0
		.amdhsa_exception_fp_ieee_overflow 0
		.amdhsa_exception_fp_ieee_underflow 0
		.amdhsa_exception_fp_ieee_inexact 0
		.amdhsa_exception_int_div_zero 0
	.end_amdhsa_kernel
	.section	.text._ZL19rocblas_copy_kernelIiLi256EPKP19rocblas_complex_numIdES4_EviT1_lT_lT2_lS6_li,"axG",@progbits,_ZL19rocblas_copy_kernelIiLi256EPKP19rocblas_complex_numIdES4_EviT1_lT_lT2_lS6_li,comdat
.Lfunc_end24:
	.size	_ZL19rocblas_copy_kernelIiLi256EPKP19rocblas_complex_numIdES4_EviT1_lT_lT2_lS6_li, .Lfunc_end24-_ZL19rocblas_copy_kernelIiLi256EPKP19rocblas_complex_numIdES4_EviT1_lT_lT2_lS6_li
                                        ; -- End function
	.set _ZL19rocblas_copy_kernelIiLi256EPKP19rocblas_complex_numIdES4_EviT1_lT_lT2_lS6_li.num_vgpr, 10
	.set _ZL19rocblas_copy_kernelIiLi256EPKP19rocblas_complex_numIdES4_EviT1_lT_lT2_lS6_li.num_agpr, 0
	.set _ZL19rocblas_copy_kernelIiLi256EPKP19rocblas_complex_numIdES4_EviT1_lT_lT2_lS6_li.numbered_sgpr, 18
	.set _ZL19rocblas_copy_kernelIiLi256EPKP19rocblas_complex_numIdES4_EviT1_lT_lT2_lS6_li.num_named_barrier, 0
	.set _ZL19rocblas_copy_kernelIiLi256EPKP19rocblas_complex_numIdES4_EviT1_lT_lT2_lS6_li.private_seg_size, 0
	.set _ZL19rocblas_copy_kernelIiLi256EPKP19rocblas_complex_numIdES4_EviT1_lT_lT2_lS6_li.uses_vcc, 1
	.set _ZL19rocblas_copy_kernelIiLi256EPKP19rocblas_complex_numIdES4_EviT1_lT_lT2_lS6_li.uses_flat_scratch, 0
	.set _ZL19rocblas_copy_kernelIiLi256EPKP19rocblas_complex_numIdES4_EviT1_lT_lT2_lS6_li.has_dyn_sized_stack, 0
	.set _ZL19rocblas_copy_kernelIiLi256EPKP19rocblas_complex_numIdES4_EviT1_lT_lT2_lS6_li.has_recursion, 0
	.set _ZL19rocblas_copy_kernelIiLi256EPKP19rocblas_complex_numIdES4_EviT1_lT_lT2_lS6_li.has_indirect_call, 0
	.section	.AMDGPU.csdata,"",@progbits
; Kernel info:
; codeLenInByte = 248
; TotalNumSgprs: 24
; NumVgprs: 10
; NumAgprs: 0
; TotalNumVgprs: 10
; ScratchSize: 0
; MemoryBound: 0
; FloatMode: 240
; IeeeMode: 1
; LDSByteSize: 0 bytes/workgroup (compile time only)
; SGPRBlocks: 2
; VGPRBlocks: 1
; NumSGPRsForWavesPerEU: 24
; NumVGPRsForWavesPerEU: 10
; AccumOffset: 12
; Occupancy: 8
; WaveLimiterHint : 1
; COMPUTE_PGM_RSRC2:SCRATCH_EN: 0
; COMPUTE_PGM_RSRC2:USER_SGPR: 2
; COMPUTE_PGM_RSRC2:TRAP_HANDLER: 0
; COMPUTE_PGM_RSRC2:TGID_X_EN: 1
; COMPUTE_PGM_RSRC2:TGID_Y_EN: 0
; COMPUTE_PGM_RSRC2:TGID_Z_EN: 1
; COMPUTE_PGM_RSRC2:TIDIG_COMP_CNT: 0
; COMPUTE_PGM_RSRC3_GFX90A:ACCUM_OFFSET: 2
; COMPUTE_PGM_RSRC3_GFX90A:TG_SPLIT: 0
	.section	.text._ZL20rocblas_tbmvx_kernelILi64ELi16EPKPK19rocblas_complex_numIdEPKPS1_Ev18rocblas_operation_bbiiT1_lllSA_T2_llli,"axG",@progbits,_ZL20rocblas_tbmvx_kernelILi64ELi16EPKPK19rocblas_complex_numIdEPKPS1_Ev18rocblas_operation_bbiiT1_lllSA_T2_llli,comdat
	.globl	_ZL20rocblas_tbmvx_kernelILi64ELi16EPKPK19rocblas_complex_numIdEPKPS1_Ev18rocblas_operation_bbiiT1_lllSA_T2_llli ; -- Begin function _ZL20rocblas_tbmvx_kernelILi64ELi16EPKPK19rocblas_complex_numIdEPKPS1_Ev18rocblas_operation_bbiiT1_lllSA_T2_llli
	.p2align	8
	.type	_ZL20rocblas_tbmvx_kernelILi64ELi16EPKPK19rocblas_complex_numIdEPKPS1_Ev18rocblas_operation_bbiiT1_lllSA_T2_llli,@function
_ZL20rocblas_tbmvx_kernelILi64ELi16EPKPK19rocblas_complex_numIdEPKPS1_Ev18rocblas_operation_bbiiT1_lllSA_T2_llli: ; @_ZL20rocblas_tbmvx_kernelILi64ELi16EPKPK19rocblas_complex_numIdEPKPS1_Ev18rocblas_operation_bbiiT1_lllSA_T2_llli
; %bb.0:
	s_load_dwordx2 s[4:5], s[0:1], 0x6c
	s_mov_b32 s26, s3
	s_waitcnt lgkmcnt(0)
	s_lshr_b32 s6, s4, 16
	s_and_b32 s3, s4, 0xffff
	s_and_b32 s5, s5, 0xffff
	s_mul_i32 s4, s6, s3
	s_mul_i32 s4, s4, s5
	s_cmpk_lg_i32 s4, 0x400
	s_cbranch_scc1 .LBB25_60
; %bb.1:
	s_load_dwordx2 s[36:37], s[0:1], 0x0
	s_load_dwordx4 s[12:15], s[0:1], 0x4
	s_load_dwordx4 s[16:19], s[0:1], 0x10
	s_load_dwordx2 s[20:21], s[0:1], 0x20
	s_load_dwordx8 s[4:11], s[0:1], 0x30
	s_waitcnt lgkmcnt(0)
	s_bitcmp1_b32 s37, 0
	s_cselect_b64 s[22:23], -1, 0
	s_bitcmp1_b32 s12, 8
	s_mov_b32 s27, 0
	s_cselect_b64 s[24:25], -1, 0
	s_lshl_b64 s[28:29], s[26:27], 3
	s_add_u32 s16, s16, s28
	s_addc_u32 s17, s17, s29
	s_add_u32 s4, s4, s28
	s_addc_u32 s5, s5, s29
	s_load_dwordx2 s[26:27], s[4:5], 0x0
	s_add_u32 s4, s6, s28
	s_addc_u32 s5, s7, s29
	s_load_dwordx2 s[16:17], s[16:17], 0x0
	v_and_b32_e32 v1, 0x3ff, v0
	s_load_dwordx2 s[6:7], s[4:5], 0x0
	v_bfe_u32 v0, v0, 10, 10
	v_mad_u32_u24 v19, v0, s3, v1
	v_and_b32_e32 v15, 63, v19
	s_lshl_b32 s12, s2, 6
	s_mov_b64 s[0:1], -1
	v_lshrrev_b32_e32 v4, 6, v19
	s_cmpk_lg_i32 s36, 0x6f
	v_or_b32_e32 v6, s12, v15
                                        ; implicit-def: $vgpr0_vgpr1
	s_cbranch_scc0 .LBB25_32
; %bb.2:
	v_mov_b32_e32 v9, 0
	v_mov_b32_e32 v5, v9
	v_cmp_gt_i64_e32 vcc, s[20:21], v[4:5]
	v_cmp_ge_i32_e64 s[0:1], s14, v4
	s_and_b64 s[0:1], s[0:1], vcc
	v_mov_b64_e32 v[0:1], 0
	v_mov_b64_e32 v[2:3], 0
	s_and_saveexec_b64 s[28:29], s[0:1]
	s_cbranch_execz .LBB25_31
; %bb.3:
	s_xor_b64 s[30:31], s[22:23], -1
	s_xor_b64 s[34:35], s[24:25], -1
	s_cmpk_eq_i32 s36, 0x71
	s_cselect_b64 s[0:1], -1, 0
	s_lshl_b64 s[4:5], s[18:19], 4
	v_ashrrev_i32_e32 v7, 31, v6
	s_waitcnt lgkmcnt(0)
	s_add_u32 s36, s16, s4
	v_mul_lo_u32 v2, s21, v6
	v_mul_lo_u32 v3, s20, v7
	v_mad_u64_u32 v[0:1], s[38:39], s20, v6, 0
	s_addc_u32 s37, s17, s5
	v_add3_u32 v1, v1, v3, v2
	v_add_u32_e32 v14, s12, v15
	v_lshl_add_u64 v[10:11], v[0:1], 4, s[36:37]
	v_ashrrev_i32_e32 v0, 31, v14
	v_mul_lo_u32 v2, s20, v0
	v_mul_lo_u32 v3, s21, v14
	v_mad_u64_u32 v[0:1], s[36:37], s20, v14, 0
	v_add3_u32 v1, v1, v2, v3
	v_lshl_add_u64 v[0:1], v[0:1], 4, s[4:5]
	v_lshlrev_b32_e32 v8, 4, v4
	v_lshl_add_u64 v[0:1], v[0:1], 0, v[8:9]
	v_mov_b64_e32 v[2:3], 0
	v_cmp_gt_i32_e64 s[2:3], s13, v6
	v_xad_u32 v26, v6, -1, s13
	v_lshl_add_u64 v[12:13], v[6:7], 4, s[26:27]
	v_sub_u32_e32 v7, s14, v6
	v_lshl_add_u64 v[16:17], s[16:17], 0, v[0:1]
	v_subrev_u32_e32 v18, s14, v14
	s_mov_b64 s[36:37], 0
	s_mov_b64 s[38:39], 0x100
	v_mov_b64_e32 v[20:21], v[4:5]
	v_mov_b64_e32 v[0:1], v[2:3]
	s_branch .LBB25_9
.LBB25_4:                               ;   in Loop: Header=BB25_9 Depth=1
	v_mov_b64_e32 v[2:3], v[22:23]
	v_mov_b64_e32 v[0:1], v[24:25]
.LBB25_5:                               ;   in Loop: Header=BB25_9 Depth=1
	s_or_b64 exec, exec, s[42:43]
.LBB25_6:                               ;   in Loop: Header=BB25_9 Depth=1
	s_or_b64 exec, exec, s[4:5]
	v_mov_b64_e32 v[22:23], v[2:3]
	v_mov_b64_e32 v[24:25], v[0:1]
.LBB25_7:                               ;   in Loop: Header=BB25_9 Depth=1
	v_mov_b64_e32 v[0:1], v[24:25]
	v_mov_b64_e32 v[2:3], v[22:23]
.LBB25_8:                               ;   in Loop: Header=BB25_9 Depth=1
	s_or_b64 exec, exec, s[40:41]
	v_lshl_add_u64 v[20:21], v[20:21], 0, 16
	v_mov_b32_e32 v8, v20
	v_cmp_le_u64_e32 vcc, s[20:21], v[8:9]
	v_cmp_lt_i32_e64 s[4:5], s14, v20
	s_or_b64 s[4:5], s[4:5], vcc
	s_and_b64 s[4:5], exec, s[4:5]
	s_or_b64 s[36:37], s[4:5], s[36:37]
	v_lshl_add_u64 v[16:17], v[16:17], 0, s[38:39]
	s_andn2_b64 exec, exec, s[36:37]
	s_cbranch_execz .LBB25_30
.LBB25_9:                               ; =>This Inner Loop Header: Depth=1
	s_and_saveexec_b64 s[40:41], s[2:3]
	s_cbranch_execz .LBB25_8
; %bb.10:                               ;   in Loop: Header=BB25_9 Depth=1
	s_mov_b64 s[4:5], -1
	s_and_b64 vcc, exec, s[30:31]
                                        ; implicit-def: $vgpr22_vgpr23
                                        ; implicit-def: $vgpr24_vgpr25
	s_cbranch_vccz .LBB25_21
; %bb.11:                               ;   in Loop: Header=BB25_9 Depth=1
	v_cmp_lt_i32_e32 vcc, v26, v20
	v_cmp_eq_u64_e64 s[4:5], 0, v[20:21]
	s_or_b64 s[4:5], s[4:5], vcc
                                        ; implicit-def: $vgpr22_vgpr23
                                        ; implicit-def: $vgpr24_vgpr25
	s_and_saveexec_b64 s[42:43], s[4:5]
	s_xor_b64 s[4:5], exec, s[42:43]
	s_cbranch_execz .LBB25_18
; %bb.12:                               ;   in Loop: Header=BB25_9 Depth=1
	v_cmp_eq_u64_e32 vcc, 0, v[20:21]
	v_mov_b64_e32 v[22:23], v[2:3]
	v_mov_b64_e32 v[24:25], v[0:1]
	s_and_saveexec_b64 s[42:43], vcc
	s_cbranch_execz .LBB25_17
; %bb.13:                               ;   in Loop: Header=BB25_9 Depth=1
	s_mov_b64 s[44:45], -1
	s_and_b64 vcc, exec, s[34:35]
                                        ; implicit-def: $vgpr22_vgpr23
                                        ; implicit-def: $vgpr24_vgpr25
	s_cbranch_vccz .LBB25_15
; %bb.14:                               ;   in Loop: Header=BB25_9 Depth=1
	flat_load_dwordx4 v[22:25], v[10:11]
	flat_load_dwordx4 v[28:31], v[12:13]
	s_mov_b64 s[44:45], 0
	s_waitcnt vmcnt(0) lgkmcnt(0)
	v_xor_b32_e32 v5, 0x80000000, v25
	v_cndmask_b32_e64 v25, v25, v5, s[0:1]
	v_mul_f64 v[32:33], v[22:23], v[30:31]
	v_mul_f64 v[30:31], v[24:25], v[30:31]
	v_fmac_f64_e32 v[32:33], v[24:25], v[28:29]
	v_fma_f64 v[24:25], v[22:23], v[28:29], -v[30:31]
	v_add_f64 v[22:23], v[2:3], v[32:33]
	v_add_f64 v[24:25], v[0:1], v[24:25]
.LBB25_15:                              ;   in Loop: Header=BB25_9 Depth=1
	s_andn2_b64 vcc, exec, s[44:45]
	s_cbranch_vccnz .LBB25_17
; %bb.16:                               ;   in Loop: Header=BB25_9 Depth=1
	flat_load_dwordx4 v[28:31], v[12:13]
	s_waitcnt vmcnt(0) lgkmcnt(0)
	v_add_f64 v[24:25], v[0:1], v[28:29]
	v_add_f64 v[22:23], v[2:3], v[30:31]
.LBB25_17:                              ;   in Loop: Header=BB25_9 Depth=1
	s_or_b64 exec, exec, s[42:43]
.LBB25_18:                              ;   in Loop: Header=BB25_9 Depth=1
	s_andn2_saveexec_b64 s[4:5], s[4:5]
	s_cbranch_execz .LBB25_20
; %bb.19:                               ;   in Loop: Header=BB25_9 Depth=1
	v_add_u32_e32 v28, v14, v20
	flat_load_dwordx4 v[22:25], v[16:17]
	v_ashrrev_i32_e32 v29, 31, v28
	v_lshl_add_u64 v[28:29], v[28:29], 4, s[26:27]
	flat_load_dwordx4 v[28:31], v[28:29]
	s_waitcnt vmcnt(0) lgkmcnt(0)
	v_xor_b32_e32 v5, 0x80000000, v25
	v_cndmask_b32_e64 v25, v25, v5, s[0:1]
	v_mul_f64 v[32:33], v[24:25], v[30:31]
	v_mul_f64 v[30:31], v[22:23], v[30:31]
	v_fma_f64 v[22:23], v[22:23], v[28:29], -v[32:33]
	v_fmac_f64_e32 v[30:31], v[24:25], v[28:29]
	v_add_f64 v[24:25], v[0:1], v[22:23]
	v_add_f64 v[22:23], v[2:3], v[30:31]
.LBB25_20:                              ;   in Loop: Header=BB25_9 Depth=1
	s_or_b64 exec, exec, s[4:5]
	s_mov_b64 s[4:5], 0
.LBB25_21:                              ;   in Loop: Header=BB25_9 Depth=1
	s_andn2_b64 vcc, exec, s[4:5]
	s_cbranch_vccnz .LBB25_7
; %bb.22:                               ;   in Loop: Header=BB25_9 Depth=1
	v_cmp_gt_i32_e32 vcc, s14, v20
	v_cmp_le_i32_e64 s[4:5], v7, v20
	s_and_b64 s[4:5], vcc, s[4:5]
	s_and_saveexec_b64 s[42:43], s[4:5]
	s_xor_b64 s[4:5], exec, s[42:43]
	s_cbranch_execz .LBB25_24
; %bb.23:                               ;   in Loop: Header=BB25_9 Depth=1
	flat_load_dwordx4 v[22:25], v[16:17]
	v_add_u32_e32 v8, v18, v20
	v_lshl_add_u64 v[28:29], v[8:9], 4, s[26:27]
	flat_load_dwordx4 v[28:31], v[28:29]
	s_waitcnt vmcnt(0) lgkmcnt(0)
	v_xor_b32_e32 v5, 0x80000000, v25
	v_cndmask_b32_e64 v25, v25, v5, s[0:1]
	v_mul_f64 v[32:33], v[24:25], v[30:31]
	v_mul_f64 v[30:31], v[22:23], v[30:31]
	v_fma_f64 v[22:23], v[22:23], v[28:29], -v[32:33]
	v_fmac_f64_e32 v[30:31], v[24:25], v[28:29]
	v_add_f64 v[0:1], v[0:1], v[22:23]
	v_add_f64 v[2:3], v[2:3], v[30:31]
.LBB25_24:                              ;   in Loop: Header=BB25_9 Depth=1
	s_andn2_saveexec_b64 s[4:5], s[4:5]
	s_cbranch_execz .LBB25_6
; %bb.25:                               ;   in Loop: Header=BB25_9 Depth=1
	v_cmp_eq_u32_e32 vcc, s14, v20
	s_and_saveexec_b64 s[42:43], vcc
	s_cbranch_execz .LBB25_5
; %bb.26:                               ;   in Loop: Header=BB25_9 Depth=1
	s_mov_b64 s[44:45], -1
	s_and_b64 vcc, exec, s[34:35]
                                        ; implicit-def: $vgpr22_vgpr23
                                        ; implicit-def: $vgpr24_vgpr25
	s_cbranch_vccz .LBB25_28
; %bb.27:                               ;   in Loop: Header=BB25_9 Depth=1
	flat_load_dwordx4 v[22:25], v[16:17]
	flat_load_dwordx4 v[28:31], v[12:13]
	s_mov_b64 s[44:45], 0
	s_waitcnt vmcnt(0) lgkmcnt(0)
	v_xor_b32_e32 v5, 0x80000000, v25
	v_cndmask_b32_e64 v25, v25, v5, s[0:1]
	v_mul_f64 v[32:33], v[22:23], v[30:31]
	v_mul_f64 v[30:31], v[24:25], v[30:31]
	v_fmac_f64_e32 v[32:33], v[24:25], v[28:29]
	v_fma_f64 v[24:25], v[22:23], v[28:29], -v[30:31]
	v_add_f64 v[22:23], v[2:3], v[32:33]
	v_add_f64 v[24:25], v[0:1], v[24:25]
.LBB25_28:                              ;   in Loop: Header=BB25_9 Depth=1
	s_andn2_b64 vcc, exec, s[44:45]
	s_cbranch_vccnz .LBB25_4
; %bb.29:                               ;   in Loop: Header=BB25_9 Depth=1
	flat_load_dwordx4 v[28:31], v[12:13]
	s_waitcnt vmcnt(0) lgkmcnt(0)
	v_add_f64 v[24:25], v[0:1], v[28:29]
	v_add_f64 v[22:23], v[2:3], v[30:31]
	s_branch .LBB25_4
.LBB25_30:
	s_or_b64 exec, exec, s[36:37]
.LBB25_31:
	s_or_b64 exec, exec, s[28:29]
	s_mov_b64 s[0:1], 0
.LBB25_32:
	s_andn2_b64 vcc, exec, s[0:1]
	s_cbranch_vccnz .LBB25_58
; %bb.33:
	v_cmp_gt_i32_e32 vcc, s13, v4
	v_mov_b64_e32 v[0:1], 0
	v_mov_b64_e32 v[2:3], 0
	s_and_saveexec_b64 s[28:29], vcc
	s_cbranch_execz .LBB25_57
; %bb.34:
	s_and_b64 s[0:1], s[22:23], exec
	s_cselect_b32 s33, s14, 0
	s_and_b64 s[2:3], s[22:23], s[24:25]
	s_xor_b64 s[30:31], s[2:3], -1
	s_xor_b64 s[2:3], s[24:25], -1
	s_cmp_lg_u32 s14, 0
	s_cselect_b64 s[4:5], -1, 0
	s_add_i32 s33, s33, s12
	v_cmp_gt_i32_e64 s[0:1], s13, v6
	s_and_b64 s[4:5], s[22:23], s[4:5]
	v_lshlrev_b32_e32 v6, 4, v4
	v_mov_b32_e32 v7, 0
	v_add_u32_e32 v0, s33, v15
	s_nor_b64 s[2:3], s[4:5], s[2:3]
	s_waitcnt lgkmcnt(0)
	v_lshl_add_u64 v[8:9], s[26:27], 0, v[6:7]
	v_sub_u32_e32 v6, v0, v4
	v_mad_u64_u32 v[0:1], s[4:5], s20, v4, 0
	v_mov_b32_e32 v2, v1
	v_mad_u64_u32 v[2:3], s[4:5], s21, v4, v[2:3]
	s_ashr_i32 s15, s14, 31
	s_lshl_b64 s[4:5], s[18:19], 4
	s_add_u32 s4, s16, s4
	v_mov_b32_e32 v1, v2
	s_addc_u32 s5, s17, s5
	v_lshl_add_u64 v[10:11], v[0:1], 4, s[4:5]
	v_mov_b64_e32 v[2:3], 0
	v_cndmask_b32_e64 v0, 0, 1, s[2:3]
	s_lshl_b64 s[16:17], s[20:21], 8
	s_lshl_b64 s[18:19], s[14:15], 4
	s_mov_b64 s[20:21], 0
	v_cmp_ne_u32_e64 s[2:3], 1, v0
	s_mov_b64 s[22:23], 0x100
	v_mov_b64_e32 v[0:1], v[2:3]
	s_branch .LBB25_37
.LBB25_35:                              ;   in Loop: Header=BB25_37 Depth=1
	s_or_b64 exec, exec, s[4:5]
.LBB25_36:                              ;   in Loop: Header=BB25_37 Depth=1
	s_or_b64 exec, exec, s[24:25]
	v_add_u32_e32 v4, 16, v4
	v_cmp_le_i32_e32 vcc, s13, v4
	v_lshl_add_u64 v[8:9], v[8:9], 0, s[22:23]
	v_add_u32_e32 v6, -16, v6
	s_or_b64 s[20:21], vcc, s[20:21]
	v_lshl_add_u64 v[10:11], v[10:11], 0, s[16:17]
	s_andn2_b64 exec, exec, s[20:21]
	s_cbranch_execz .LBB25_56
.LBB25_37:                              ; =>This Inner Loop Header: Depth=1
	s_and_saveexec_b64 s[24:25], s[0:1]
	s_cbranch_execz .LBB25_36
; %bb.38:                               ;   in Loop: Header=BB25_37 Depth=1
	v_cmp_le_i32_e32 vcc, s14, v6
	v_cmp_gt_i32_e64 s[4:5], 1, v6
	s_or_b64 s[4:5], vcc, s[4:5]
	s_and_saveexec_b64 s[26:27], s[4:5]
	s_xor_b64 s[4:5], exec, s[26:27]
	s_cbranch_execz .LBB25_54
; %bb.39:                               ;   in Loop: Header=BB25_37 Depth=1
	v_cmp_ne_u32_e32 vcc, 0, v6
	s_and_saveexec_b64 s[26:27], vcc
	s_xor_b64 s[26:27], exec, s[26:27]
	s_cbranch_execz .LBB25_47
; %bb.40:                               ;   in Loop: Header=BB25_37 Depth=1
	v_cmp_eq_u32_e32 vcc, s14, v6
	s_and_saveexec_b64 s[34:35], vcc
	s_cbranch_execz .LBB25_46
; %bb.41:                               ;   in Loop: Header=BB25_37 Depth=1
	s_mov_b64 s[36:37], -1
	s_and_b64 vcc, exec, s[30:31]
                                        ; implicit-def: $vgpr14_vgpr15
                                        ; implicit-def: $vgpr12_vgpr13
	s_cbranch_vccz .LBB25_43
; %bb.42:                               ;   in Loop: Header=BB25_37 Depth=1
	v_lshl_add_u64 v[16:17], v[10:11], 0, s[18:19]
	flat_load_dwordx4 v[12:15], v[8:9]
	flat_load_dwordx4 v[20:23], v[16:17]
	s_mov_b64 s[36:37], 0
	s_waitcnt vmcnt(0) lgkmcnt(0)
	v_mul_f64 v[16:17], v[14:15], v[22:23]
	v_mul_f64 v[22:23], v[12:13], v[22:23]
	v_fma_f64 v[12:13], v[12:13], v[20:21], -v[16:17]
	v_fmac_f64_e32 v[22:23], v[14:15], v[20:21]
	v_add_f64 v[12:13], v[0:1], v[12:13]
	v_add_f64 v[14:15], v[2:3], v[22:23]
.LBB25_43:                              ;   in Loop: Header=BB25_37 Depth=1
	s_andn2_b64 vcc, exec, s[36:37]
	s_cbranch_vccnz .LBB25_45
; %bb.44:                               ;   in Loop: Header=BB25_37 Depth=1
	flat_load_dwordx4 v[12:15], v[8:9]
	s_waitcnt vmcnt(0) lgkmcnt(0)
	v_add_f64 v[12:13], v[0:1], v[12:13]
	v_add_f64 v[14:15], v[2:3], v[14:15]
.LBB25_45:                              ;   in Loop: Header=BB25_37 Depth=1
	v_mov_b64_e32 v[2:3], v[14:15]
	v_mov_b64_e32 v[0:1], v[12:13]
.LBB25_46:                              ;   in Loop: Header=BB25_37 Depth=1
	s_or_b64 exec, exec, s[34:35]
.LBB25_47:                              ;   in Loop: Header=BB25_37 Depth=1
	s_andn2_saveexec_b64 s[26:27], s[26:27]
	s_cbranch_execz .LBB25_53
; %bb.48:                               ;   in Loop: Header=BB25_37 Depth=1
	s_and_b64 vcc, exec, s[2:3]
	s_mov_b64 s[34:35], -1
                                        ; implicit-def: $vgpr14_vgpr15
                                        ; implicit-def: $vgpr12_vgpr13
	s_cbranch_vccnz .LBB25_50
; %bb.49:                               ;   in Loop: Header=BB25_37 Depth=1
	flat_load_dwordx4 v[12:15], v[8:9]
	s_mov_b64 s[34:35], 0
	s_waitcnt vmcnt(0) lgkmcnt(0)
	v_add_f64 v[12:13], v[0:1], v[12:13]
	v_add_f64 v[14:15], v[2:3], v[14:15]
.LBB25_50:                              ;   in Loop: Header=BB25_37 Depth=1
	s_andn2_b64 vcc, exec, s[34:35]
	s_cbranch_vccnz .LBB25_52
; %bb.51:                               ;   in Loop: Header=BB25_37 Depth=1
	flat_load_dwordx4 v[12:15], v[8:9]
	flat_load_dwordx4 v[20:23], v[10:11]
	s_waitcnt vmcnt(0) lgkmcnt(0)
	v_mul_f64 v[16:17], v[14:15], v[22:23]
	v_mul_f64 v[22:23], v[12:13], v[22:23]
	v_fma_f64 v[12:13], v[12:13], v[20:21], -v[16:17]
	v_fmac_f64_e32 v[22:23], v[14:15], v[20:21]
	v_add_f64 v[12:13], v[0:1], v[12:13]
	v_add_f64 v[14:15], v[2:3], v[22:23]
.LBB25_52:                              ;   in Loop: Header=BB25_37 Depth=1
	v_mov_b64_e32 v[2:3], v[14:15]
	v_mov_b64_e32 v[0:1], v[12:13]
.LBB25_53:                              ;   in Loop: Header=BB25_37 Depth=1
	s_or_b64 exec, exec, s[26:27]
.LBB25_54:                              ;   in Loop: Header=BB25_37 Depth=1
	s_andn2_saveexec_b64 s[4:5], s[4:5]
	s_cbranch_execz .LBB25_35
; %bb.55:                               ;   in Loop: Header=BB25_37 Depth=1
	v_lshl_add_u64 v[16:17], v[6:7], 4, v[10:11]
	flat_load_dwordx4 v[12:15], v[8:9]
	flat_load_dwordx4 v[20:23], v[16:17]
	s_waitcnt vmcnt(0) lgkmcnt(0)
	v_mul_f64 v[16:17], v[14:15], v[22:23]
	v_mul_f64 v[22:23], v[12:13], v[22:23]
	v_fma_f64 v[12:13], v[12:13], v[20:21], -v[16:17]
	v_fmac_f64_e32 v[22:23], v[14:15], v[20:21]
	v_add_f64 v[0:1], v[0:1], v[12:13]
	v_add_f64 v[2:3], v[2:3], v[22:23]
	s_branch .LBB25_35
.LBB25_56:
	s_or_b64 exec, exec, s[20:21]
.LBB25_57:
	s_or_b64 exec, exec, s[28:29]
.LBB25_58:
	v_lshlrev_b32_e32 v4, 4, v19
	ds_write_b128 v4, v[0:3]
	v_add_u32_e32 v0, s12, v19
	v_cmp_gt_u32_e32 vcc, 64, v19
	v_cmp_gt_i32_e64 s[0:1], s13, v0
	s_and_b64 s[0:1], vcc, s[0:1]
	s_waitcnt lgkmcnt(0)
	s_barrier
	s_and_saveexec_b64 s[2:3], s[0:1]
	s_cbranch_execz .LBB25_60
; %bb.59:
	ds_read_b128 v[6:9], v4
	ds_read_b128 v[10:13], v4 offset:1024
	ds_read_b128 v[14:17], v4 offset:2048
	;; [unrolled: 1-line block ×3, first 2 shown]
	s_lshl_b64 s[0:1], s[8:9], 4
	v_ashrrev_i32_e32 v1, 31, v0
	s_waitcnt lgkmcnt(2)
	v_add_f64 v[2:3], v[6:7], v[10:11]
	v_add_f64 v[10:11], v[8:9], v[12:13]
	ds_read_b128 v[6:9], v4 offset:4096
	s_waitcnt lgkmcnt(2)
	v_add_f64 v[2:3], v[2:3], v[14:15]
	v_add_f64 v[14:15], v[10:11], v[16:17]
	ds_read_b128 v[10:13], v4 offset:5120
	;; [unrolled: 4-line block ×9, first 2 shown]
	s_waitcnt lgkmcnt(2)
	v_add_f64 v[2:3], v[2:3], v[6:7]
	v_add_f64 v[6:7], v[18:19], v[8:9]
	s_waitcnt lgkmcnt(1)
	v_add_f64 v[18:19], v[6:7], v[12:13]
	ds_read_b128 v[6:9], v4 offset:13312
	v_add_f64 v[2:3], v[2:3], v[10:11]
	ds_read_b128 v[10:13], v4 offset:14336
	s_waitcnt lgkmcnt(2)
	v_add_f64 v[2:3], v[2:3], v[14:15]
	v_add_f64 v[18:19], v[18:19], v[16:17]
	ds_read_b128 v[14:17], v4 offset:15360
	s_waitcnt lgkmcnt(2)
	v_add_f64 v[2:3], v[2:3], v[6:7]
	v_add_f64 v[6:7], v[18:19], v[8:9]
	s_waitcnt lgkmcnt(1)
	v_add_f64 v[2:3], v[2:3], v[10:11]
	s_add_u32 s0, s6, s0
	v_add_f64 v[8:9], v[6:7], v[12:13]
	s_waitcnt lgkmcnt(0)
	v_add_f64 v[6:7], v[2:3], v[14:15]
	v_mul_lo_u32 v2, s11, v0
	v_mul_lo_u32 v3, s10, v1
	v_mad_u64_u32 v[0:1], s[2:3], s10, v0, 0
	s_addc_u32 s1, s7, s1
	v_add3_u32 v1, v1, v3, v2
	v_add_f64 v[8:9], v[8:9], v[16:17]
	v_lshl_add_u64 v[0:1], v[0:1], 4, s[0:1]
	ds_write_b128 v4, v[6:9]
	flat_store_dwordx4 v[0:1], v[6:9]
.LBB25_60:
	s_endpgm
	.section	.rodata,"a",@progbits
	.p2align	6, 0x0
	.amdhsa_kernel _ZL20rocblas_tbmvx_kernelILi64ELi16EPKPK19rocblas_complex_numIdEPKPS1_Ev18rocblas_operation_bbiiT1_lllSA_T2_llli
		.amdhsa_group_segment_fixed_size 16384
		.amdhsa_private_segment_fixed_size 0
		.amdhsa_kernarg_size 352
		.amdhsa_user_sgpr_count 2
		.amdhsa_user_sgpr_dispatch_ptr 0
		.amdhsa_user_sgpr_queue_ptr 0
		.amdhsa_user_sgpr_kernarg_segment_ptr 1
		.amdhsa_user_sgpr_dispatch_id 0
		.amdhsa_user_sgpr_kernarg_preload_length 0
		.amdhsa_user_sgpr_kernarg_preload_offset 0
		.amdhsa_user_sgpr_private_segment_size 0
		.amdhsa_uses_dynamic_stack 0
		.amdhsa_enable_private_segment 0
		.amdhsa_system_sgpr_workgroup_id_x 1
		.amdhsa_system_sgpr_workgroup_id_y 0
		.amdhsa_system_sgpr_workgroup_id_z 1
		.amdhsa_system_sgpr_workgroup_info 0
		.amdhsa_system_vgpr_workitem_id 1
		.amdhsa_next_free_vgpr 34
		.amdhsa_next_free_sgpr 46
		.amdhsa_accum_offset 36
		.amdhsa_reserve_vcc 1
		.amdhsa_float_round_mode_32 0
		.amdhsa_float_round_mode_16_64 0
		.amdhsa_float_denorm_mode_32 3
		.amdhsa_float_denorm_mode_16_64 3
		.amdhsa_dx10_clamp 1
		.amdhsa_ieee_mode 1
		.amdhsa_fp16_overflow 0
		.amdhsa_tg_split 0
		.amdhsa_exception_fp_ieee_invalid_op 0
		.amdhsa_exception_fp_denorm_src 0
		.amdhsa_exception_fp_ieee_div_zero 0
		.amdhsa_exception_fp_ieee_overflow 0
		.amdhsa_exception_fp_ieee_underflow 0
		.amdhsa_exception_fp_ieee_inexact 0
		.amdhsa_exception_int_div_zero 0
	.end_amdhsa_kernel
	.section	.text._ZL20rocblas_tbmvx_kernelILi64ELi16EPKPK19rocblas_complex_numIdEPKPS1_Ev18rocblas_operation_bbiiT1_lllSA_T2_llli,"axG",@progbits,_ZL20rocblas_tbmvx_kernelILi64ELi16EPKPK19rocblas_complex_numIdEPKPS1_Ev18rocblas_operation_bbiiT1_lllSA_T2_llli,comdat
.Lfunc_end25:
	.size	_ZL20rocblas_tbmvx_kernelILi64ELi16EPKPK19rocblas_complex_numIdEPKPS1_Ev18rocblas_operation_bbiiT1_lllSA_T2_llli, .Lfunc_end25-_ZL20rocblas_tbmvx_kernelILi64ELi16EPKPK19rocblas_complex_numIdEPKPS1_Ev18rocblas_operation_bbiiT1_lllSA_T2_llli
                                        ; -- End function
	.set _ZL20rocblas_tbmvx_kernelILi64ELi16EPKPK19rocblas_complex_numIdEPKPS1_Ev18rocblas_operation_bbiiT1_lllSA_T2_llli.num_vgpr, 34
	.set _ZL20rocblas_tbmvx_kernelILi64ELi16EPKPK19rocblas_complex_numIdEPKPS1_Ev18rocblas_operation_bbiiT1_lllSA_T2_llli.num_agpr, 0
	.set _ZL20rocblas_tbmvx_kernelILi64ELi16EPKPK19rocblas_complex_numIdEPKPS1_Ev18rocblas_operation_bbiiT1_lllSA_T2_llli.numbered_sgpr, 46
	.set _ZL20rocblas_tbmvx_kernelILi64ELi16EPKPK19rocblas_complex_numIdEPKPS1_Ev18rocblas_operation_bbiiT1_lllSA_T2_llli.num_named_barrier, 0
	.set _ZL20rocblas_tbmvx_kernelILi64ELi16EPKPK19rocblas_complex_numIdEPKPS1_Ev18rocblas_operation_bbiiT1_lllSA_T2_llli.private_seg_size, 0
	.set _ZL20rocblas_tbmvx_kernelILi64ELi16EPKPK19rocblas_complex_numIdEPKPS1_Ev18rocblas_operation_bbiiT1_lllSA_T2_llli.uses_vcc, 1
	.set _ZL20rocblas_tbmvx_kernelILi64ELi16EPKPK19rocblas_complex_numIdEPKPS1_Ev18rocblas_operation_bbiiT1_lllSA_T2_llli.uses_flat_scratch, 0
	.set _ZL20rocblas_tbmvx_kernelILi64ELi16EPKPK19rocblas_complex_numIdEPKPS1_Ev18rocblas_operation_bbiiT1_lllSA_T2_llli.has_dyn_sized_stack, 0
	.set _ZL20rocblas_tbmvx_kernelILi64ELi16EPKPK19rocblas_complex_numIdEPKPS1_Ev18rocblas_operation_bbiiT1_lllSA_T2_llli.has_recursion, 0
	.set _ZL20rocblas_tbmvx_kernelILi64ELi16EPKPK19rocblas_complex_numIdEPKPS1_Ev18rocblas_operation_bbiiT1_lllSA_T2_llli.has_indirect_call, 0
	.section	.AMDGPU.csdata,"",@progbits
; Kernel info:
; codeLenInByte = 2392
; TotalNumSgprs: 52
; NumVgprs: 34
; NumAgprs: 0
; TotalNumVgprs: 34
; ScratchSize: 0
; MemoryBound: 1
; FloatMode: 240
; IeeeMode: 1
; LDSByteSize: 16384 bytes/workgroup (compile time only)
; SGPRBlocks: 6
; VGPRBlocks: 4
; NumSGPRsForWavesPerEU: 52
; NumVGPRsForWavesPerEU: 34
; AccumOffset: 36
; Occupancy: 8
; WaveLimiterHint : 1
; COMPUTE_PGM_RSRC2:SCRATCH_EN: 0
; COMPUTE_PGM_RSRC2:USER_SGPR: 2
; COMPUTE_PGM_RSRC2:TRAP_HANDLER: 0
; COMPUTE_PGM_RSRC2:TGID_X_EN: 1
; COMPUTE_PGM_RSRC2:TGID_Y_EN: 0
; COMPUTE_PGM_RSRC2:TGID_Z_EN: 1
; COMPUTE_PGM_RSRC2:TIDIG_COMP_CNT: 1
; COMPUTE_PGM_RSRC3_GFX90A:ACCUM_OFFSET: 8
; COMPUTE_PGM_RSRC3_GFX90A:TG_SPLIT: 0
	.section	.AMDGPU.gpr_maximums,"",@progbits
	.set amdgpu.max_num_vgpr, 0
	.set amdgpu.max_num_agpr, 0
	.set amdgpu.max_num_sgpr, 0
	.section	.AMDGPU.csdata,"",@progbits
	.type	__hip_cuid_8bf37820ccd90ad,@object ; @__hip_cuid_8bf37820ccd90ad
	.section	.bss,"aw",@nobits
	.globl	__hip_cuid_8bf37820ccd90ad
__hip_cuid_8bf37820ccd90ad:
	.byte	0                               ; 0x0
	.size	__hip_cuid_8bf37820ccd90ad, 1

	.ident	"AMD clang version 22.0.0git (https://github.com/RadeonOpenCompute/llvm-project roc-7.2.4 26084 f58b06dce1f9c15707c5f808fd002e18c2accf7e)"
	.section	".note.GNU-stack","",@progbits
	.addrsig
	.addrsig_sym __hip_cuid_8bf37820ccd90ad
	.amdgpu_metadata
---
amdhsa.kernels:
  - .agpr_count:     0
    .args:
      - .offset:         0
        .size:           4
        .value_kind:     by_value
      - .address_space:  global
        .offset:         8
        .size:           8
        .value_kind:     global_buffer
      - .offset:         16
        .size:           8
        .value_kind:     by_value
      - .offset:         24
        .size:           8
        .value_kind:     by_value
      - .offset:         32
        .size:           8
        .value_kind:     by_value
      - .address_space:  global
        .offset:         40
        .size:           8
        .value_kind:     global_buffer
      - .offset:         48
        .size:           8
        .value_kind:     by_value
      - .offset:         56
        .size:           8
        .value_kind:     by_value
      - .offset:         64
        .size:           8
        .value_kind:     by_value
      - .offset:         72
        .size:           4
        .value_kind:     by_value
    .group_segment_fixed_size: 0
    .kernarg_segment_align: 8
    .kernarg_segment_size: 76
    .language:       OpenCL C
    .language_version:
      - 2
      - 0
    .max_flat_workgroup_size: 256
    .name:           _ZL19rocblas_copy_kernelIlLi256EPfS0_EviT1_lT_lT2_lS2_li
    .private_segment_fixed_size: 0
    .sgpr_count:     26
    .sgpr_spill_count: 0
    .symbol:         _ZL19rocblas_copy_kernelIlLi256EPfS0_EviT1_lT_lT2_lS2_li.kd
    .uniform_work_group_size: 1
    .uses_dynamic_stack: false
    .vgpr_count:     6
    .vgpr_spill_count: 0
    .wavefront_size: 64
  - .agpr_count:     0
    .args:
      - .offset:         0
        .size:           4
        .value_kind:     by_value
      - .actual_access:  read_only
        .address_space:  global
        .offset:         8
        .size:           8
        .value_kind:     global_buffer
      - .offset:         16
        .size:           8
        .value_kind:     by_value
      - .offset:         24
        .size:           8
        .value_kind:     by_value
      - .actual_access:  write_only
        .address_space:  global
        .offset:         32
        .size:           8
        .value_kind:     global_buffer
      - .offset:         40
        .size:           8
        .value_kind:     by_value
      - .offset:         48
        .size:           8
        .value_kind:     by_value
      - .offset:         56
        .size:           4
        .value_kind:     by_value
    .group_segment_fixed_size: 0
    .kernarg_segment_align: 8
    .kernarg_segment_size: 60
    .language:       OpenCL C
    .language_version:
      - 2
      - 0
    .max_flat_workgroup_size: 256
    .name:           _ZL22rocblas_scopy_2_kernelILi256EPfS0_EviT0_llT1_lli
    .private_segment_fixed_size: 0
    .sgpr_count:     24
    .sgpr_spill_count: 0
    .symbol:         _ZL22rocblas_scopy_2_kernelILi256EPfS0_EviT0_llT1_lli.kd
    .uniform_work_group_size: 1
    .uses_dynamic_stack: false
    .vgpr_count:     8
    .vgpr_spill_count: 0
    .wavefront_size: 64
  - .agpr_count:     0
    .args:
      - .offset:         0
        .size:           4
        .value_kind:     by_value
      - .address_space:  global
        .offset:         8
        .size:           8
        .value_kind:     global_buffer
      - .offset:         16
        .size:           8
        .value_kind:     by_value
      - .offset:         24
        .size:           4
        .value_kind:     by_value
      - .offset:         32
        .size:           8
        .value_kind:     by_value
      - .address_space:  global
        .offset:         40
        .size:           8
        .value_kind:     global_buffer
      - .offset:         48
        .size:           8
        .value_kind:     by_value
      - .offset:         56
        .size:           4
        .value_kind:     by_value
      - .offset:         64
        .size:           8
        .value_kind:     by_value
      - .offset:         72
        .size:           4
        .value_kind:     by_value
    .group_segment_fixed_size: 0
    .kernarg_segment_align: 8
    .kernarg_segment_size: 76
    .language:       OpenCL C
    .language_version:
      - 2
      - 0
    .max_flat_workgroup_size: 256
    .name:           _ZL19rocblas_copy_kernelIiLi256EPfS0_EviT1_lT_lT2_lS2_li
    .private_segment_fixed_size: 0
    .sgpr_count:     26
    .sgpr_spill_count: 0
    .symbol:         _ZL19rocblas_copy_kernelIiLi256EPfS0_EviT1_lT_lT2_lS2_li.kd
    .uniform_work_group_size: 1
    .uses_dynamic_stack: false
    .vgpr_count:     6
    .vgpr_spill_count: 0
    .wavefront_size: 64
  - .agpr_count:     0
    .args:
      - .offset:         0
        .size:           4
        .value_kind:     by_value
      - .offset:         4
        .size:           1
        .value_kind:     by_value
      - .offset:         5
        .size:           1
        .value_kind:     by_value
      - .offset:         8
        .size:           4
        .value_kind:     by_value
      - .offset:         12
        .size:           4
        .value_kind:     by_value
      - .address_space:  global
        .offset:         16
        .size:           8
        .value_kind:     global_buffer
      - .offset:         24
        .size:           8
        .value_kind:     by_value
      - .offset:         32
        .size:           8
        .value_kind:     by_value
      - .offset:         40
        .size:           8
        .value_kind:     by_value
      - .address_space:  global
        .offset:         48
        .size:           8
        .value_kind:     global_buffer
      - .address_space:  global
        .offset:         56
        .size:           8
        .value_kind:     global_buffer
      - .offset:         64
        .size:           8
        .value_kind:     by_value
      - .offset:         72
        .size:           8
        .value_kind:     by_value
      - .offset:         80
        .size:           8
        .value_kind:     by_value
      - .offset:         88
        .size:           4
        .value_kind:     by_value
      - .offset:         96
        .size:           4
        .value_kind:     hidden_block_count_x
      - .offset:         100
        .size:           4
        .value_kind:     hidden_block_count_y
      - .offset:         104
        .size:           4
        .value_kind:     hidden_block_count_z
      - .offset:         108
        .size:           2
        .value_kind:     hidden_group_size_x
      - .offset:         110
        .size:           2
        .value_kind:     hidden_group_size_y
      - .offset:         112
        .size:           2
        .value_kind:     hidden_group_size_z
      - .offset:         114
        .size:           2
        .value_kind:     hidden_remainder_x
      - .offset:         116
        .size:           2
        .value_kind:     hidden_remainder_y
      - .offset:         118
        .size:           2
        .value_kind:     hidden_remainder_z
      - .offset:         136
        .size:           8
        .value_kind:     hidden_global_offset_x
      - .offset:         144
        .size:           8
        .value_kind:     hidden_global_offset_y
      - .offset:         152
        .size:           8
        .value_kind:     hidden_global_offset_z
      - .offset:         160
        .size:           2
        .value_kind:     hidden_grid_dims
    .group_segment_fixed_size: 4096
    .kernarg_segment_align: 8
    .kernarg_segment_size: 352
    .language:       OpenCL C
    .language_version:
      - 2
      - 0
    .max_flat_workgroup_size: 1024
    .name:           _ZL20rocblas_tbmvx_kernelILi64ELi16EPKfPfEv18rocblas_operation_bbiiT1_lllS4_T2_llli
    .private_segment_fixed_size: 0
    .sgpr_count:     58
    .sgpr_spill_count: 0
    .symbol:         _ZL20rocblas_tbmvx_kernelILi64ELi16EPKfPfEv18rocblas_operation_bbiiT1_lllS4_T2_llli.kd
    .uniform_work_group_size: 1
    .uses_dynamic_stack: false
    .vgpr_count:     22
    .vgpr_spill_count: 0
    .wavefront_size: 64
  - .agpr_count:     0
    .args:
      - .offset:         0
        .size:           4
        .value_kind:     by_value
      - .address_space:  global
        .offset:         8
        .size:           8
        .value_kind:     global_buffer
      - .offset:         16
        .size:           8
        .value_kind:     by_value
      - .offset:         24
        .size:           8
        .value_kind:     by_value
      - .offset:         32
        .size:           8
        .value_kind:     by_value
      - .address_space:  global
        .offset:         40
        .size:           8
        .value_kind:     global_buffer
      - .offset:         48
        .size:           8
        .value_kind:     by_value
      - .offset:         56
        .size:           8
        .value_kind:     by_value
      - .offset:         64
        .size:           8
        .value_kind:     by_value
      - .offset:         72
        .size:           4
        .value_kind:     by_value
    .group_segment_fixed_size: 0
    .kernarg_segment_align: 8
    .kernarg_segment_size: 76
    .language:       OpenCL C
    .language_version:
      - 2
      - 0
    .max_flat_workgroup_size: 256
    .name:           _ZL19rocblas_copy_kernelIlLi256EPdS0_EviT1_lT_lT2_lS2_li
    .private_segment_fixed_size: 0
    .sgpr_count:     26
    .sgpr_spill_count: 0
    .symbol:         _ZL19rocblas_copy_kernelIlLi256EPdS0_EviT1_lT_lT2_lS2_li.kd
    .uniform_work_group_size: 1
    .uses_dynamic_stack: false
    .vgpr_count:     8
    .vgpr_spill_count: 0
    .wavefront_size: 64
  - .agpr_count:     0
    .args:
      - .offset:         0
        .size:           4
        .value_kind:     by_value
      - .address_space:  global
        .offset:         8
        .size:           8
        .value_kind:     global_buffer
      - .offset:         16
        .size:           8
        .value_kind:     by_value
      - .offset:         24
        .size:           4
        .value_kind:     by_value
      - .offset:         32
        .size:           8
        .value_kind:     by_value
      - .address_space:  global
        .offset:         40
        .size:           8
        .value_kind:     global_buffer
      - .offset:         48
        .size:           8
        .value_kind:     by_value
      - .offset:         56
        .size:           4
        .value_kind:     by_value
      - .offset:         64
        .size:           8
        .value_kind:     by_value
      - .offset:         72
        .size:           4
        .value_kind:     by_value
    .group_segment_fixed_size: 0
    .kernarg_segment_align: 8
    .kernarg_segment_size: 76
    .language:       OpenCL C
    .language_version:
      - 2
      - 0
    .max_flat_workgroup_size: 256
    .name:           _ZL19rocblas_copy_kernelIiLi256EPdS0_EviT1_lT_lT2_lS2_li
    .private_segment_fixed_size: 0
    .sgpr_count:     26
    .sgpr_spill_count: 0
    .symbol:         _ZL19rocblas_copy_kernelIiLi256EPdS0_EviT1_lT_lT2_lS2_li.kd
    .uniform_work_group_size: 1
    .uses_dynamic_stack: false
    .vgpr_count:     8
    .vgpr_spill_count: 0
    .wavefront_size: 64
  - .agpr_count:     0
    .args:
      - .offset:         0
        .size:           4
        .value_kind:     by_value
      - .offset:         4
        .size:           1
        .value_kind:     by_value
      - .offset:         5
        .size:           1
        .value_kind:     by_value
      - .offset:         8
        .size:           4
        .value_kind:     by_value
      - .offset:         12
        .size:           4
        .value_kind:     by_value
      - .address_space:  global
        .offset:         16
        .size:           8
        .value_kind:     global_buffer
      - .offset:         24
        .size:           8
        .value_kind:     by_value
      - .offset:         32
        .size:           8
        .value_kind:     by_value
      - .offset:         40
        .size:           8
        .value_kind:     by_value
      - .address_space:  global
        .offset:         48
        .size:           8
        .value_kind:     global_buffer
      - .address_space:  global
        .offset:         56
        .size:           8
        .value_kind:     global_buffer
      - .offset:         64
        .size:           8
        .value_kind:     by_value
      - .offset:         72
        .size:           8
        .value_kind:     by_value
      - .offset:         80
        .size:           8
        .value_kind:     by_value
      - .offset:         88
        .size:           4
        .value_kind:     by_value
      - .offset:         96
        .size:           4
        .value_kind:     hidden_block_count_x
      - .offset:         100
        .size:           4
        .value_kind:     hidden_block_count_y
      - .offset:         104
        .size:           4
        .value_kind:     hidden_block_count_z
      - .offset:         108
        .size:           2
        .value_kind:     hidden_group_size_x
      - .offset:         110
        .size:           2
        .value_kind:     hidden_group_size_y
      - .offset:         112
        .size:           2
        .value_kind:     hidden_group_size_z
      - .offset:         114
        .size:           2
        .value_kind:     hidden_remainder_x
      - .offset:         116
        .size:           2
        .value_kind:     hidden_remainder_y
      - .offset:         118
        .size:           2
        .value_kind:     hidden_remainder_z
      - .offset:         136
        .size:           8
        .value_kind:     hidden_global_offset_x
      - .offset:         144
        .size:           8
        .value_kind:     hidden_global_offset_y
      - .offset:         152
        .size:           8
        .value_kind:     hidden_global_offset_z
      - .offset:         160
        .size:           2
        .value_kind:     hidden_grid_dims
    .group_segment_fixed_size: 8192
    .kernarg_segment_align: 8
    .kernarg_segment_size: 352
    .language:       OpenCL C
    .language_version:
      - 2
      - 0
    .max_flat_workgroup_size: 1024
    .name:           _ZL20rocblas_tbmvx_kernelILi64ELi16EPKdPdEv18rocblas_operation_bbiiT1_lllS4_T2_llli
    .private_segment_fixed_size: 0
    .sgpr_count:     60
    .sgpr_spill_count: 0
    .symbol:         _ZL20rocblas_tbmvx_kernelILi64ELi16EPKdPdEv18rocblas_operation_bbiiT1_lllS4_T2_llli.kd
    .uniform_work_group_size: 1
    .uses_dynamic_stack: false
    .vgpr_count:     26
    .vgpr_spill_count: 0
    .wavefront_size: 64
  - .agpr_count:     0
    .args:
      - .offset:         0
        .size:           4
        .value_kind:     by_value
      - .address_space:  global
        .offset:         8
        .size:           8
        .value_kind:     global_buffer
      - .offset:         16
        .size:           8
        .value_kind:     by_value
      - .offset:         24
        .size:           8
        .value_kind:     by_value
      - .offset:         32
        .size:           8
        .value_kind:     by_value
      - .address_space:  global
        .offset:         40
        .size:           8
        .value_kind:     global_buffer
      - .offset:         48
        .size:           8
        .value_kind:     by_value
      - .offset:         56
        .size:           8
        .value_kind:     by_value
      - .offset:         64
        .size:           8
        .value_kind:     by_value
      - .offset:         72
        .size:           4
        .value_kind:     by_value
    .group_segment_fixed_size: 0
    .kernarg_segment_align: 8
    .kernarg_segment_size: 76
    .language:       OpenCL C
    .language_version:
      - 2
      - 0
    .max_flat_workgroup_size: 256
    .name:           _ZL19rocblas_copy_kernelIlLi256EP19rocblas_complex_numIfES2_EviT1_lT_lT2_lS4_li
    .private_segment_fixed_size: 0
    .sgpr_count:     26
    .sgpr_spill_count: 0
    .symbol:         _ZL19rocblas_copy_kernelIlLi256EP19rocblas_complex_numIfES2_EviT1_lT_lT2_lS4_li.kd
    .uniform_work_group_size: 1
    .uses_dynamic_stack: false
    .vgpr_count:     8
    .vgpr_spill_count: 0
    .wavefront_size: 64
  - .agpr_count:     0
    .args:
      - .offset:         0
        .size:           4
        .value_kind:     by_value
      - .address_space:  global
        .offset:         8
        .size:           8
        .value_kind:     global_buffer
      - .offset:         16
        .size:           8
        .value_kind:     by_value
      - .offset:         24
        .size:           4
        .value_kind:     by_value
      - .offset:         32
        .size:           8
        .value_kind:     by_value
      - .address_space:  global
        .offset:         40
        .size:           8
        .value_kind:     global_buffer
      - .offset:         48
        .size:           8
        .value_kind:     by_value
      - .offset:         56
        .size:           4
        .value_kind:     by_value
      - .offset:         64
        .size:           8
        .value_kind:     by_value
      - .offset:         72
        .size:           4
        .value_kind:     by_value
    .group_segment_fixed_size: 0
    .kernarg_segment_align: 8
    .kernarg_segment_size: 76
    .language:       OpenCL C
    .language_version:
      - 2
      - 0
    .max_flat_workgroup_size: 256
    .name:           _ZL19rocblas_copy_kernelIiLi256EP19rocblas_complex_numIfES2_EviT1_lT_lT2_lS4_li
    .private_segment_fixed_size: 0
    .sgpr_count:     26
    .sgpr_spill_count: 0
    .symbol:         _ZL19rocblas_copy_kernelIiLi256EP19rocblas_complex_numIfES2_EviT1_lT_lT2_lS4_li.kd
    .uniform_work_group_size: 1
    .uses_dynamic_stack: false
    .vgpr_count:     8
    .vgpr_spill_count: 0
    .wavefront_size: 64
  - .agpr_count:     0
    .args:
      - .offset:         0
        .size:           4
        .value_kind:     by_value
      - .offset:         4
        .size:           1
        .value_kind:     by_value
      - .offset:         5
        .size:           1
        .value_kind:     by_value
      - .offset:         8
        .size:           4
        .value_kind:     by_value
      - .offset:         12
        .size:           4
        .value_kind:     by_value
      - .address_space:  global
        .offset:         16
        .size:           8
        .value_kind:     global_buffer
      - .offset:         24
        .size:           8
        .value_kind:     by_value
      - .offset:         32
        .size:           8
        .value_kind:     by_value
      - .offset:         40
        .size:           8
        .value_kind:     by_value
      - .address_space:  global
        .offset:         48
        .size:           8
        .value_kind:     global_buffer
      - .address_space:  global
        .offset:         56
        .size:           8
        .value_kind:     global_buffer
      - .offset:         64
        .size:           8
        .value_kind:     by_value
      - .offset:         72
        .size:           8
        .value_kind:     by_value
      - .offset:         80
        .size:           8
        .value_kind:     by_value
      - .offset:         88
        .size:           4
        .value_kind:     by_value
      - .offset:         96
        .size:           4
        .value_kind:     hidden_block_count_x
      - .offset:         100
        .size:           4
        .value_kind:     hidden_block_count_y
      - .offset:         104
        .size:           4
        .value_kind:     hidden_block_count_z
      - .offset:         108
        .size:           2
        .value_kind:     hidden_group_size_x
      - .offset:         110
        .size:           2
        .value_kind:     hidden_group_size_y
      - .offset:         112
        .size:           2
        .value_kind:     hidden_group_size_z
      - .offset:         114
        .size:           2
        .value_kind:     hidden_remainder_x
      - .offset:         116
        .size:           2
        .value_kind:     hidden_remainder_y
      - .offset:         118
        .size:           2
        .value_kind:     hidden_remainder_z
      - .offset:         136
        .size:           8
        .value_kind:     hidden_global_offset_x
      - .offset:         144
        .size:           8
        .value_kind:     hidden_global_offset_y
      - .offset:         152
        .size:           8
        .value_kind:     hidden_global_offset_z
      - .offset:         160
        .size:           2
        .value_kind:     hidden_grid_dims
    .group_segment_fixed_size: 8192
    .kernarg_segment_align: 8
    .kernarg_segment_size: 352
    .language:       OpenCL C
    .language_version:
      - 2
      - 0
    .max_flat_workgroup_size: 1024
    .name:           _ZL20rocblas_tbmvx_kernelILi64ELi16EPK19rocblas_complex_numIfEPS1_Ev18rocblas_operation_bbiiT1_lllS6_T2_llli
    .private_segment_fixed_size: 0
    .sgpr_count:     62
    .sgpr_spill_count: 0
    .symbol:         _ZL20rocblas_tbmvx_kernelILi64ELi16EPK19rocblas_complex_numIfEPS1_Ev18rocblas_operation_bbiiT1_lllS6_T2_llli.kd
    .uniform_work_group_size: 1
    .uses_dynamic_stack: false
    .vgpr_count:     30
    .vgpr_spill_count: 0
    .wavefront_size: 64
  - .agpr_count:     0
    .args:
      - .offset:         0
        .size:           4
        .value_kind:     by_value
      - .address_space:  global
        .offset:         8
        .size:           8
        .value_kind:     global_buffer
      - .offset:         16
        .size:           8
        .value_kind:     by_value
      - .offset:         24
        .size:           8
        .value_kind:     by_value
      - .offset:         32
        .size:           8
        .value_kind:     by_value
      - .address_space:  global
        .offset:         40
        .size:           8
        .value_kind:     global_buffer
      - .offset:         48
        .size:           8
        .value_kind:     by_value
      - .offset:         56
        .size:           8
        .value_kind:     by_value
      - .offset:         64
        .size:           8
        .value_kind:     by_value
      - .offset:         72
        .size:           4
        .value_kind:     by_value
    .group_segment_fixed_size: 0
    .kernarg_segment_align: 8
    .kernarg_segment_size: 76
    .language:       OpenCL C
    .language_version:
      - 2
      - 0
    .max_flat_workgroup_size: 256
    .name:           _ZL19rocblas_copy_kernelIlLi256EP19rocblas_complex_numIdES2_EviT1_lT_lT2_lS4_li
    .private_segment_fixed_size: 0
    .sgpr_count:     26
    .sgpr_spill_count: 0
    .symbol:         _ZL19rocblas_copy_kernelIlLi256EP19rocblas_complex_numIdES2_EviT1_lT_lT2_lS4_li.kd
    .uniform_work_group_size: 1
    .uses_dynamic_stack: false
    .vgpr_count:     10
    .vgpr_spill_count: 0
    .wavefront_size: 64
  - .agpr_count:     0
    .args:
      - .offset:         0
        .size:           4
        .value_kind:     by_value
      - .address_space:  global
        .offset:         8
        .size:           8
        .value_kind:     global_buffer
      - .offset:         16
        .size:           8
        .value_kind:     by_value
      - .offset:         24
        .size:           4
        .value_kind:     by_value
      - .offset:         32
        .size:           8
        .value_kind:     by_value
      - .address_space:  global
        .offset:         40
        .size:           8
        .value_kind:     global_buffer
      - .offset:         48
        .size:           8
        .value_kind:     by_value
      - .offset:         56
        .size:           4
        .value_kind:     by_value
      - .offset:         64
        .size:           8
        .value_kind:     by_value
      - .offset:         72
        .size:           4
        .value_kind:     by_value
    .group_segment_fixed_size: 0
    .kernarg_segment_align: 8
    .kernarg_segment_size: 76
    .language:       OpenCL C
    .language_version:
      - 2
      - 0
    .max_flat_workgroup_size: 256
    .name:           _ZL19rocblas_copy_kernelIiLi256EP19rocblas_complex_numIdES2_EviT1_lT_lT2_lS4_li
    .private_segment_fixed_size: 0
    .sgpr_count:     26
    .sgpr_spill_count: 0
    .symbol:         _ZL19rocblas_copy_kernelIiLi256EP19rocblas_complex_numIdES2_EviT1_lT_lT2_lS4_li.kd
    .uniform_work_group_size: 1
    .uses_dynamic_stack: false
    .vgpr_count:     10
    .vgpr_spill_count: 0
    .wavefront_size: 64
  - .agpr_count:     0
    .args:
      - .offset:         0
        .size:           4
        .value_kind:     by_value
      - .offset:         4
        .size:           1
        .value_kind:     by_value
      - .offset:         5
        .size:           1
        .value_kind:     by_value
      - .offset:         8
        .size:           4
        .value_kind:     by_value
      - .offset:         12
        .size:           4
        .value_kind:     by_value
      - .address_space:  global
        .offset:         16
        .size:           8
        .value_kind:     global_buffer
      - .offset:         24
        .size:           8
        .value_kind:     by_value
      - .offset:         32
        .size:           8
        .value_kind:     by_value
      - .offset:         40
        .size:           8
        .value_kind:     by_value
      - .address_space:  global
        .offset:         48
        .size:           8
        .value_kind:     global_buffer
      - .address_space:  global
        .offset:         56
        .size:           8
        .value_kind:     global_buffer
      - .offset:         64
        .size:           8
        .value_kind:     by_value
      - .offset:         72
        .size:           8
        .value_kind:     by_value
      - .offset:         80
        .size:           8
        .value_kind:     by_value
      - .offset:         88
        .size:           4
        .value_kind:     by_value
      - .offset:         96
        .size:           4
        .value_kind:     hidden_block_count_x
      - .offset:         100
        .size:           4
        .value_kind:     hidden_block_count_y
      - .offset:         104
        .size:           4
        .value_kind:     hidden_block_count_z
      - .offset:         108
        .size:           2
        .value_kind:     hidden_group_size_x
      - .offset:         110
        .size:           2
        .value_kind:     hidden_group_size_y
      - .offset:         112
        .size:           2
        .value_kind:     hidden_group_size_z
      - .offset:         114
        .size:           2
        .value_kind:     hidden_remainder_x
      - .offset:         116
        .size:           2
        .value_kind:     hidden_remainder_y
      - .offset:         118
        .size:           2
        .value_kind:     hidden_remainder_z
      - .offset:         136
        .size:           8
        .value_kind:     hidden_global_offset_x
      - .offset:         144
        .size:           8
        .value_kind:     hidden_global_offset_y
      - .offset:         152
        .size:           8
        .value_kind:     hidden_global_offset_z
      - .offset:         160
        .size:           2
        .value_kind:     hidden_grid_dims
    .group_segment_fixed_size: 16384
    .kernarg_segment_align: 8
    .kernarg_segment_size: 352
    .language:       OpenCL C
    .language_version:
      - 2
      - 0
    .max_flat_workgroup_size: 1024
    .name:           _ZL20rocblas_tbmvx_kernelILi64ELi16EPK19rocblas_complex_numIdEPS1_Ev18rocblas_operation_bbiiT1_lllS6_T2_llli
    .private_segment_fixed_size: 0
    .sgpr_count:     62
    .sgpr_spill_count: 0
    .symbol:         _ZL20rocblas_tbmvx_kernelILi64ELi16EPK19rocblas_complex_numIdEPS1_Ev18rocblas_operation_bbiiT1_lllS6_T2_llli.kd
    .uniform_work_group_size: 1
    .uses_dynamic_stack: false
    .vgpr_count:     34
    .vgpr_spill_count: 0
    .wavefront_size: 64
  - .agpr_count:     0
    .args:
      - .offset:         0
        .size:           4
        .value_kind:     by_value
      - .address_space:  global
        .offset:         8
        .size:           8
        .value_kind:     global_buffer
      - .offset:         16
        .size:           8
        .value_kind:     by_value
      - .offset:         24
        .size:           8
        .value_kind:     by_value
      - .offset:         32
        .size:           8
        .value_kind:     by_value
      - .address_space:  global
        .offset:         40
        .size:           8
        .value_kind:     global_buffer
      - .offset:         48
        .size:           8
        .value_kind:     by_value
      - .offset:         56
        .size:           8
        .value_kind:     by_value
      - .offset:         64
        .size:           8
        .value_kind:     by_value
      - .offset:         72
        .size:           4
        .value_kind:     by_value
    .group_segment_fixed_size: 0
    .kernarg_segment_align: 8
    .kernarg_segment_size: 76
    .language:       OpenCL C
    .language_version:
      - 2
      - 0
    .max_flat_workgroup_size: 256
    .name:           _ZL19rocblas_copy_kernelIlLi256EPKPfS2_EviT1_lT_lT2_lS4_li
    .private_segment_fixed_size: 0
    .sgpr_count:     24
    .sgpr_spill_count: 0
    .symbol:         _ZL19rocblas_copy_kernelIlLi256EPKPfS2_EviT1_lT_lT2_lS4_li.kd
    .uniform_work_group_size: 1
    .uses_dynamic_stack: false
    .vgpr_count:     6
    .vgpr_spill_count: 0
    .wavefront_size: 64
  - .agpr_count:     0
    .args:
      - .offset:         0
        .size:           4
        .value_kind:     by_value
      - .actual_access:  read_only
        .address_space:  global
        .offset:         8
        .size:           8
        .value_kind:     global_buffer
      - .offset:         16
        .size:           8
        .value_kind:     by_value
      - .offset:         24
        .size:           8
        .value_kind:     by_value
      - .actual_access:  read_only
        .address_space:  global
        .offset:         32
        .size:           8
        .value_kind:     global_buffer
      - .offset:         40
        .size:           8
        .value_kind:     by_value
      - .offset:         48
        .size:           8
        .value_kind:     by_value
      - .offset:         56
        .size:           4
        .value_kind:     by_value
    .group_segment_fixed_size: 0
    .kernarg_segment_align: 8
    .kernarg_segment_size: 60
    .language:       OpenCL C
    .language_version:
      - 2
      - 0
    .max_flat_workgroup_size: 256
    .name:           _ZL22rocblas_scopy_2_kernelILi256EPKPfS2_EviT0_llT1_lli
    .private_segment_fixed_size: 0
    .sgpr_count:     24
    .sgpr_spill_count: 0
    .symbol:         _ZL22rocblas_scopy_2_kernelILi256EPKPfS2_EviT0_llT1_lli.kd
    .uniform_work_group_size: 1
    .uses_dynamic_stack: false
    .vgpr_count:     9
    .vgpr_spill_count: 0
    .wavefront_size: 64
  - .agpr_count:     0
    .args:
      - .offset:         0
        .size:           4
        .value_kind:     by_value
      - .address_space:  global
        .offset:         8
        .size:           8
        .value_kind:     global_buffer
      - .offset:         16
        .size:           8
        .value_kind:     by_value
      - .offset:         24
        .size:           4
        .value_kind:     by_value
      - .offset:         32
        .size:           8
        .value_kind:     by_value
      - .address_space:  global
        .offset:         40
        .size:           8
        .value_kind:     global_buffer
      - .offset:         48
        .size:           8
        .value_kind:     by_value
      - .offset:         56
        .size:           4
        .value_kind:     by_value
      - .offset:         64
        .size:           8
        .value_kind:     by_value
      - .offset:         72
        .size:           4
        .value_kind:     by_value
    .group_segment_fixed_size: 0
    .kernarg_segment_align: 8
    .kernarg_segment_size: 76
    .language:       OpenCL C
    .language_version:
      - 2
      - 0
    .max_flat_workgroup_size: 256
    .name:           _ZL19rocblas_copy_kernelIiLi256EPKPfS2_EviT1_lT_lT2_lS4_li
    .private_segment_fixed_size: 0
    .sgpr_count:     24
    .sgpr_spill_count: 0
    .symbol:         _ZL19rocblas_copy_kernelIiLi256EPKPfS2_EviT1_lT_lT2_lS4_li.kd
    .uniform_work_group_size: 1
    .uses_dynamic_stack: false
    .vgpr_count:     6
    .vgpr_spill_count: 0
    .wavefront_size: 64
  - .agpr_count:     0
    .args:
      - .offset:         0
        .size:           4
        .value_kind:     by_value
      - .offset:         4
        .size:           1
        .value_kind:     by_value
      - .offset:         5
        .size:           1
        .value_kind:     by_value
      - .offset:         8
        .size:           4
        .value_kind:     by_value
      - .offset:         12
        .size:           4
        .value_kind:     by_value
      - .address_space:  global
        .offset:         16
        .size:           8
        .value_kind:     global_buffer
      - .offset:         24
        .size:           8
        .value_kind:     by_value
      - .offset:         32
        .size:           8
        .value_kind:     by_value
      - .offset:         40
        .size:           8
        .value_kind:     by_value
      - .address_space:  global
        .offset:         48
        .size:           8
        .value_kind:     global_buffer
      - .address_space:  global
        .offset:         56
        .size:           8
        .value_kind:     global_buffer
      - .offset:         64
        .size:           8
        .value_kind:     by_value
      - .offset:         72
        .size:           8
        .value_kind:     by_value
      - .offset:         80
        .size:           8
        .value_kind:     by_value
      - .offset:         88
        .size:           4
        .value_kind:     by_value
      - .offset:         96
        .size:           4
        .value_kind:     hidden_block_count_x
      - .offset:         100
        .size:           4
        .value_kind:     hidden_block_count_y
      - .offset:         104
        .size:           4
        .value_kind:     hidden_block_count_z
      - .offset:         108
        .size:           2
        .value_kind:     hidden_group_size_x
      - .offset:         110
        .size:           2
        .value_kind:     hidden_group_size_y
      - .offset:         112
        .size:           2
        .value_kind:     hidden_group_size_z
      - .offset:         114
        .size:           2
        .value_kind:     hidden_remainder_x
      - .offset:         116
        .size:           2
        .value_kind:     hidden_remainder_y
      - .offset:         118
        .size:           2
        .value_kind:     hidden_remainder_z
      - .offset:         136
        .size:           8
        .value_kind:     hidden_global_offset_x
      - .offset:         144
        .size:           8
        .value_kind:     hidden_global_offset_y
      - .offset:         152
        .size:           8
        .value_kind:     hidden_global_offset_z
      - .offset:         160
        .size:           2
        .value_kind:     hidden_grid_dims
    .group_segment_fixed_size: 4096
    .kernarg_segment_align: 8
    .kernarg_segment_size: 352
    .language:       OpenCL C
    .language_version:
      - 2
      - 0
    .max_flat_workgroup_size: 1024
    .name:           _ZL20rocblas_tbmvx_kernelILi64ELi16EPKPKfPKPfEv18rocblas_operation_bbiiT1_lllS8_T2_llli
    .private_segment_fixed_size: 0
    .sgpr_count:     48
    .sgpr_spill_count: 0
    .symbol:         _ZL20rocblas_tbmvx_kernelILi64ELi16EPKPKfPKPfEv18rocblas_operation_bbiiT1_lllS8_T2_llli.kd
    .uniform_work_group_size: 1
    .uses_dynamic_stack: false
    .vgpr_count:     22
    .vgpr_spill_count: 0
    .wavefront_size: 64
  - .agpr_count:     0
    .args:
      - .offset:         0
        .size:           4
        .value_kind:     by_value
      - .address_space:  global
        .offset:         8
        .size:           8
        .value_kind:     global_buffer
      - .offset:         16
        .size:           8
        .value_kind:     by_value
      - .offset:         24
        .size:           8
        .value_kind:     by_value
      - .offset:         32
        .size:           8
        .value_kind:     by_value
      - .address_space:  global
        .offset:         40
        .size:           8
        .value_kind:     global_buffer
      - .offset:         48
        .size:           8
        .value_kind:     by_value
      - .offset:         56
        .size:           8
        .value_kind:     by_value
      - .offset:         64
        .size:           8
        .value_kind:     by_value
      - .offset:         72
        .size:           4
        .value_kind:     by_value
    .group_segment_fixed_size: 0
    .kernarg_segment_align: 8
    .kernarg_segment_size: 76
    .language:       OpenCL C
    .language_version:
      - 2
      - 0
    .max_flat_workgroup_size: 256
    .name:           _ZL19rocblas_copy_kernelIlLi256EPKPdS2_EviT1_lT_lT2_lS4_li
    .private_segment_fixed_size: 0
    .sgpr_count:     24
    .sgpr_spill_count: 0
    .symbol:         _ZL19rocblas_copy_kernelIlLi256EPKPdS2_EviT1_lT_lT2_lS4_li.kd
    .uniform_work_group_size: 1
    .uses_dynamic_stack: false
    .vgpr_count:     8
    .vgpr_spill_count: 0
    .wavefront_size: 64
  - .agpr_count:     0
    .args:
      - .offset:         0
        .size:           4
        .value_kind:     by_value
      - .address_space:  global
        .offset:         8
        .size:           8
        .value_kind:     global_buffer
      - .offset:         16
        .size:           8
        .value_kind:     by_value
      - .offset:         24
        .size:           4
        .value_kind:     by_value
      - .offset:         32
        .size:           8
        .value_kind:     by_value
      - .address_space:  global
        .offset:         40
        .size:           8
        .value_kind:     global_buffer
      - .offset:         48
        .size:           8
        .value_kind:     by_value
      - .offset:         56
        .size:           4
        .value_kind:     by_value
      - .offset:         64
        .size:           8
        .value_kind:     by_value
      - .offset:         72
        .size:           4
        .value_kind:     by_value
    .group_segment_fixed_size: 0
    .kernarg_segment_align: 8
    .kernarg_segment_size: 76
    .language:       OpenCL C
    .language_version:
      - 2
      - 0
    .max_flat_workgroup_size: 256
    .name:           _ZL19rocblas_copy_kernelIiLi256EPKPdS2_EviT1_lT_lT2_lS4_li
    .private_segment_fixed_size: 0
    .sgpr_count:     24
    .sgpr_spill_count: 0
    .symbol:         _ZL19rocblas_copy_kernelIiLi256EPKPdS2_EviT1_lT_lT2_lS4_li.kd
    .uniform_work_group_size: 1
    .uses_dynamic_stack: false
    .vgpr_count:     8
    .vgpr_spill_count: 0
    .wavefront_size: 64
  - .agpr_count:     0
    .args:
      - .offset:         0
        .size:           4
        .value_kind:     by_value
      - .offset:         4
        .size:           1
        .value_kind:     by_value
      - .offset:         5
        .size:           1
        .value_kind:     by_value
      - .offset:         8
        .size:           4
        .value_kind:     by_value
      - .offset:         12
        .size:           4
        .value_kind:     by_value
      - .address_space:  global
        .offset:         16
        .size:           8
        .value_kind:     global_buffer
      - .offset:         24
        .size:           8
        .value_kind:     by_value
      - .offset:         32
        .size:           8
        .value_kind:     by_value
      - .offset:         40
        .size:           8
        .value_kind:     by_value
      - .address_space:  global
        .offset:         48
        .size:           8
        .value_kind:     global_buffer
      - .address_space:  global
        .offset:         56
        .size:           8
        .value_kind:     global_buffer
      - .offset:         64
        .size:           8
        .value_kind:     by_value
      - .offset:         72
        .size:           8
        .value_kind:     by_value
      - .offset:         80
        .size:           8
        .value_kind:     by_value
      - .offset:         88
        .size:           4
        .value_kind:     by_value
      - .offset:         96
        .size:           4
        .value_kind:     hidden_block_count_x
      - .offset:         100
        .size:           4
        .value_kind:     hidden_block_count_y
      - .offset:         104
        .size:           4
        .value_kind:     hidden_block_count_z
      - .offset:         108
        .size:           2
        .value_kind:     hidden_group_size_x
      - .offset:         110
        .size:           2
        .value_kind:     hidden_group_size_y
      - .offset:         112
        .size:           2
        .value_kind:     hidden_group_size_z
      - .offset:         114
        .size:           2
        .value_kind:     hidden_remainder_x
      - .offset:         116
        .size:           2
        .value_kind:     hidden_remainder_y
      - .offset:         118
        .size:           2
        .value_kind:     hidden_remainder_z
      - .offset:         136
        .size:           8
        .value_kind:     hidden_global_offset_x
      - .offset:         144
        .size:           8
        .value_kind:     hidden_global_offset_y
      - .offset:         152
        .size:           8
        .value_kind:     hidden_global_offset_z
      - .offset:         160
        .size:           2
        .value_kind:     hidden_grid_dims
    .group_segment_fixed_size: 8192
    .kernarg_segment_align: 8
    .kernarg_segment_size: 352
    .language:       OpenCL C
    .language_version:
      - 2
      - 0
    .max_flat_workgroup_size: 1024
    .name:           _ZL20rocblas_tbmvx_kernelILi64ELi16EPKPKdPKPdEv18rocblas_operation_bbiiT1_lllS8_T2_llli
    .private_segment_fixed_size: 0
    .sgpr_count:     50
    .sgpr_spill_count: 0
    .symbol:         _ZL20rocblas_tbmvx_kernelILi64ELi16EPKPKdPKPdEv18rocblas_operation_bbiiT1_lllS8_T2_llli.kd
    .uniform_work_group_size: 1
    .uses_dynamic_stack: false
    .vgpr_count:     26
    .vgpr_spill_count: 0
    .wavefront_size: 64
  - .agpr_count:     0
    .args:
      - .offset:         0
        .size:           4
        .value_kind:     by_value
      - .address_space:  global
        .offset:         8
        .size:           8
        .value_kind:     global_buffer
      - .offset:         16
        .size:           8
        .value_kind:     by_value
      - .offset:         24
        .size:           8
        .value_kind:     by_value
      - .offset:         32
        .size:           8
        .value_kind:     by_value
      - .address_space:  global
        .offset:         40
        .size:           8
        .value_kind:     global_buffer
      - .offset:         48
        .size:           8
        .value_kind:     by_value
      - .offset:         56
        .size:           8
        .value_kind:     by_value
      - .offset:         64
        .size:           8
        .value_kind:     by_value
      - .offset:         72
        .size:           4
        .value_kind:     by_value
    .group_segment_fixed_size: 0
    .kernarg_segment_align: 8
    .kernarg_segment_size: 76
    .language:       OpenCL C
    .language_version:
      - 2
      - 0
    .max_flat_workgroup_size: 256
    .name:           _ZL19rocblas_copy_kernelIlLi256EPKP19rocblas_complex_numIfES4_EviT1_lT_lT2_lS6_li
    .private_segment_fixed_size: 0
    .sgpr_count:     24
    .sgpr_spill_count: 0
    .symbol:         _ZL19rocblas_copy_kernelIlLi256EPKP19rocblas_complex_numIfES4_EviT1_lT_lT2_lS6_li.kd
    .uniform_work_group_size: 1
    .uses_dynamic_stack: false
    .vgpr_count:     8
    .vgpr_spill_count: 0
    .wavefront_size: 64
  - .agpr_count:     0
    .args:
      - .offset:         0
        .size:           4
        .value_kind:     by_value
      - .address_space:  global
        .offset:         8
        .size:           8
        .value_kind:     global_buffer
      - .offset:         16
        .size:           8
        .value_kind:     by_value
      - .offset:         24
        .size:           4
        .value_kind:     by_value
      - .offset:         32
        .size:           8
        .value_kind:     by_value
      - .address_space:  global
        .offset:         40
        .size:           8
        .value_kind:     global_buffer
      - .offset:         48
        .size:           8
        .value_kind:     by_value
      - .offset:         56
        .size:           4
        .value_kind:     by_value
      - .offset:         64
        .size:           8
        .value_kind:     by_value
      - .offset:         72
        .size:           4
        .value_kind:     by_value
    .group_segment_fixed_size: 0
    .kernarg_segment_align: 8
    .kernarg_segment_size: 76
    .language:       OpenCL C
    .language_version:
      - 2
      - 0
    .max_flat_workgroup_size: 256
    .name:           _ZL19rocblas_copy_kernelIiLi256EPKP19rocblas_complex_numIfES4_EviT1_lT_lT2_lS6_li
    .private_segment_fixed_size: 0
    .sgpr_count:     24
    .sgpr_spill_count: 0
    .symbol:         _ZL19rocblas_copy_kernelIiLi256EPKP19rocblas_complex_numIfES4_EviT1_lT_lT2_lS6_li.kd
    .uniform_work_group_size: 1
    .uses_dynamic_stack: false
    .vgpr_count:     8
    .vgpr_spill_count: 0
    .wavefront_size: 64
  - .agpr_count:     0
    .args:
      - .offset:         0
        .size:           4
        .value_kind:     by_value
      - .offset:         4
        .size:           1
        .value_kind:     by_value
      - .offset:         5
        .size:           1
        .value_kind:     by_value
      - .offset:         8
        .size:           4
        .value_kind:     by_value
      - .offset:         12
        .size:           4
        .value_kind:     by_value
      - .address_space:  global
        .offset:         16
        .size:           8
        .value_kind:     global_buffer
      - .offset:         24
        .size:           8
        .value_kind:     by_value
      - .offset:         32
        .size:           8
        .value_kind:     by_value
      - .offset:         40
        .size:           8
        .value_kind:     by_value
      - .address_space:  global
        .offset:         48
        .size:           8
        .value_kind:     global_buffer
      - .address_space:  global
        .offset:         56
        .size:           8
        .value_kind:     global_buffer
      - .offset:         64
        .size:           8
        .value_kind:     by_value
      - .offset:         72
        .size:           8
        .value_kind:     by_value
      - .offset:         80
        .size:           8
        .value_kind:     by_value
      - .offset:         88
        .size:           4
        .value_kind:     by_value
      - .offset:         96
        .size:           4
        .value_kind:     hidden_block_count_x
      - .offset:         100
        .size:           4
        .value_kind:     hidden_block_count_y
      - .offset:         104
        .size:           4
        .value_kind:     hidden_block_count_z
      - .offset:         108
        .size:           2
        .value_kind:     hidden_group_size_x
      - .offset:         110
        .size:           2
        .value_kind:     hidden_group_size_y
      - .offset:         112
        .size:           2
        .value_kind:     hidden_group_size_z
      - .offset:         114
        .size:           2
        .value_kind:     hidden_remainder_x
      - .offset:         116
        .size:           2
        .value_kind:     hidden_remainder_y
      - .offset:         118
        .size:           2
        .value_kind:     hidden_remainder_z
      - .offset:         136
        .size:           8
        .value_kind:     hidden_global_offset_x
      - .offset:         144
        .size:           8
        .value_kind:     hidden_global_offset_y
      - .offset:         152
        .size:           8
        .value_kind:     hidden_global_offset_z
      - .offset:         160
        .size:           2
        .value_kind:     hidden_grid_dims
    .group_segment_fixed_size: 8192
    .kernarg_segment_align: 8
    .kernarg_segment_size: 352
    .language:       OpenCL C
    .language_version:
      - 2
      - 0
    .max_flat_workgroup_size: 1024
    .name:           _ZL20rocblas_tbmvx_kernelILi64ELi16EPKPK19rocblas_complex_numIfEPKPS1_Ev18rocblas_operation_bbiiT1_lllSA_T2_llli
    .private_segment_fixed_size: 0
    .sgpr_count:     52
    .sgpr_spill_count: 0
    .symbol:         _ZL20rocblas_tbmvx_kernelILi64ELi16EPKPK19rocblas_complex_numIfEPKPS1_Ev18rocblas_operation_bbiiT1_lllSA_T2_llli.kd
    .uniform_work_group_size: 1
    .uses_dynamic_stack: false
    .vgpr_count:     30
    .vgpr_spill_count: 0
    .wavefront_size: 64
  - .agpr_count:     0
    .args:
      - .offset:         0
        .size:           4
        .value_kind:     by_value
      - .address_space:  global
        .offset:         8
        .size:           8
        .value_kind:     global_buffer
      - .offset:         16
        .size:           8
        .value_kind:     by_value
      - .offset:         24
        .size:           8
        .value_kind:     by_value
      - .offset:         32
        .size:           8
        .value_kind:     by_value
      - .address_space:  global
        .offset:         40
        .size:           8
        .value_kind:     global_buffer
      - .offset:         48
        .size:           8
        .value_kind:     by_value
      - .offset:         56
        .size:           8
        .value_kind:     by_value
      - .offset:         64
        .size:           8
        .value_kind:     by_value
      - .offset:         72
        .size:           4
        .value_kind:     by_value
    .group_segment_fixed_size: 0
    .kernarg_segment_align: 8
    .kernarg_segment_size: 76
    .language:       OpenCL C
    .language_version:
      - 2
      - 0
    .max_flat_workgroup_size: 256
    .name:           _ZL19rocblas_copy_kernelIlLi256EPKP19rocblas_complex_numIdES4_EviT1_lT_lT2_lS6_li
    .private_segment_fixed_size: 0
    .sgpr_count:     24
    .sgpr_spill_count: 0
    .symbol:         _ZL19rocblas_copy_kernelIlLi256EPKP19rocblas_complex_numIdES4_EviT1_lT_lT2_lS6_li.kd
    .uniform_work_group_size: 1
    .uses_dynamic_stack: false
    .vgpr_count:     10
    .vgpr_spill_count: 0
    .wavefront_size: 64
  - .agpr_count:     0
    .args:
      - .offset:         0
        .size:           4
        .value_kind:     by_value
      - .address_space:  global
        .offset:         8
        .size:           8
        .value_kind:     global_buffer
      - .offset:         16
        .size:           8
        .value_kind:     by_value
      - .offset:         24
        .size:           4
        .value_kind:     by_value
      - .offset:         32
        .size:           8
        .value_kind:     by_value
      - .address_space:  global
        .offset:         40
        .size:           8
        .value_kind:     global_buffer
      - .offset:         48
        .size:           8
        .value_kind:     by_value
      - .offset:         56
        .size:           4
        .value_kind:     by_value
      - .offset:         64
        .size:           8
        .value_kind:     by_value
      - .offset:         72
        .size:           4
        .value_kind:     by_value
    .group_segment_fixed_size: 0
    .kernarg_segment_align: 8
    .kernarg_segment_size: 76
    .language:       OpenCL C
    .language_version:
      - 2
      - 0
    .max_flat_workgroup_size: 256
    .name:           _ZL19rocblas_copy_kernelIiLi256EPKP19rocblas_complex_numIdES4_EviT1_lT_lT2_lS6_li
    .private_segment_fixed_size: 0
    .sgpr_count:     24
    .sgpr_spill_count: 0
    .symbol:         _ZL19rocblas_copy_kernelIiLi256EPKP19rocblas_complex_numIdES4_EviT1_lT_lT2_lS6_li.kd
    .uniform_work_group_size: 1
    .uses_dynamic_stack: false
    .vgpr_count:     10
    .vgpr_spill_count: 0
    .wavefront_size: 64
  - .agpr_count:     0
    .args:
      - .offset:         0
        .size:           4
        .value_kind:     by_value
      - .offset:         4
        .size:           1
        .value_kind:     by_value
      - .offset:         5
        .size:           1
        .value_kind:     by_value
      - .offset:         8
        .size:           4
        .value_kind:     by_value
      - .offset:         12
        .size:           4
        .value_kind:     by_value
      - .address_space:  global
        .offset:         16
        .size:           8
        .value_kind:     global_buffer
      - .offset:         24
        .size:           8
        .value_kind:     by_value
      - .offset:         32
        .size:           8
        .value_kind:     by_value
      - .offset:         40
        .size:           8
        .value_kind:     by_value
      - .address_space:  global
        .offset:         48
        .size:           8
        .value_kind:     global_buffer
      - .address_space:  global
        .offset:         56
        .size:           8
        .value_kind:     global_buffer
      - .offset:         64
        .size:           8
        .value_kind:     by_value
      - .offset:         72
        .size:           8
        .value_kind:     by_value
      - .offset:         80
        .size:           8
        .value_kind:     by_value
      - .offset:         88
        .size:           4
        .value_kind:     by_value
      - .offset:         96
        .size:           4
        .value_kind:     hidden_block_count_x
      - .offset:         100
        .size:           4
        .value_kind:     hidden_block_count_y
      - .offset:         104
        .size:           4
        .value_kind:     hidden_block_count_z
      - .offset:         108
        .size:           2
        .value_kind:     hidden_group_size_x
      - .offset:         110
        .size:           2
        .value_kind:     hidden_group_size_y
      - .offset:         112
        .size:           2
        .value_kind:     hidden_group_size_z
      - .offset:         114
        .size:           2
        .value_kind:     hidden_remainder_x
      - .offset:         116
        .size:           2
        .value_kind:     hidden_remainder_y
      - .offset:         118
        .size:           2
        .value_kind:     hidden_remainder_z
      - .offset:         136
        .size:           8
        .value_kind:     hidden_global_offset_x
      - .offset:         144
        .size:           8
        .value_kind:     hidden_global_offset_y
      - .offset:         152
        .size:           8
        .value_kind:     hidden_global_offset_z
      - .offset:         160
        .size:           2
        .value_kind:     hidden_grid_dims
    .group_segment_fixed_size: 16384
    .kernarg_segment_align: 8
    .kernarg_segment_size: 352
    .language:       OpenCL C
    .language_version:
      - 2
      - 0
    .max_flat_workgroup_size: 1024
    .name:           _ZL20rocblas_tbmvx_kernelILi64ELi16EPKPK19rocblas_complex_numIdEPKPS1_Ev18rocblas_operation_bbiiT1_lllSA_T2_llli
    .private_segment_fixed_size: 0
    .sgpr_count:     52
    .sgpr_spill_count: 0
    .symbol:         _ZL20rocblas_tbmvx_kernelILi64ELi16EPKPK19rocblas_complex_numIdEPKPS1_Ev18rocblas_operation_bbiiT1_lllSA_T2_llli.kd
    .uniform_work_group_size: 1
    .uses_dynamic_stack: false
    .vgpr_count:     34
    .vgpr_spill_count: 0
    .wavefront_size: 64
amdhsa.target:   amdgcn-amd-amdhsa--gfx950
amdhsa.version:
  - 1
  - 2
...

	.end_amdgpu_metadata
